;; amdgpu-corpus repo=ROCm/aiter kind=harvested arch=n/a opt=n/a

/root/src/amdgpu-assembly/repos/ROCm__aiter/hsa/gfx950/fmoe_2stages/fmoe_stage1_bf16_pertokenFp8_g1u1_32x64_4tg_pf2.co:	file format elf64-amdgpu

Disassembly of section .text:

0000000000002a00 <_ZN5aiter47fmoe_stage1_bf16_pertokenFp8_g1u1_32x64_4tg_pf2E>:
	s_and_b32 s1, s1, 0xffff                                   // 000000002A00: 8601FF01 0000FFFF
	s_load_dwordx2 s[8:9], s[0:1], 0x0                         // 000000002A08: C0060200 00000000
	s_load_dwordx2 s[20:21], s[0:1], 0x10                      // 000000002A10: C0060500 00000010
	s_load_dwordx2 s[24:25], s[0:1], 0x20                      // 000000002A18: C0060600 00000020
	s_load_dwordx2 s[48:49], s[0:1], 0x30                      // 000000002A20: C0060C00 00000030
	s_load_dwordx2 s[28:29], s[0:1], 0x40                      // 000000002A28: C0060700 00000040
	s_load_dwordx2 s[32:33], s[0:1], 0x50                      // 000000002A30: C0060800 00000050
	s_load_dwordx2 s[36:37], s[0:1], 0x60                      // 000000002A38: C0060900 00000060
	s_load_dwordx2 s[12:13], s[0:1], 0x70                      // 000000002A40: C0060300 00000070
	s_load_dwordx2 s[44:45], s[0:1], 0x80                      // 000000002A48: C0060B00 00000080
	s_mov_b32 s89, 0                                           // 000000002A50: BED90080
	s_load_dword s64, s[0:1], 0x90                             // 000000002A54: C0021000 00000090
	s_load_dword s65, s[0:1], 0xa0                             // 000000002A5C: C0021040 000000A0
	s_load_dword s66, s[0:1], 0xb0                             // 000000002A64: C0021080 000000B0
	s_load_dword s67, s[0:1], 0xc0                             // 000000002A6C: C00210C0 000000C0
	s_load_dword s68, s[0:1], 0xd0                             // 000000002A74: C0021100 000000D0
	s_load_dword s69, s[0:1], 0xe0                             // 000000002A7C: C0021140 000000E0
	s_load_dword s71, s[0:1], 0xf0                             // 000000002A84: C00211C0 000000F0
	s_load_dword s72, s[0:1], 0x100                            // 000000002A8C: C0021200 00000100
	s_load_dword s74, s[0:1], 0x110                            // 000000002A94: C0021280 00000110
	s_load_dword s76, s[0:1], 0x120                            // 000000002A9C: C0021300 00000120
	s_load_dword s56, s[0:1], 0x130                            // 000000002AA4: C0020E00 00000130
	s_load_dword s88, s[0:1], 0x140                            // 000000002AAC: C0021600 00000140
	s_load_dword s89, s[0:1], 0x150                            // 000000002AB4: C0021640 00000150
	v_lshrrev_b32_e32 v1, 10, v0                               // 000000002ABC: 2002008A
	v_lshrrev_b32_e32 v2, 10, v1                               // 000000002AC0: 2004028A
	v_and_b32_e32 v2, 0x3ff, v2                                // 000000002AC4: 260404FF 000003FF
	v_and_b32_e32 v1, 0x3ff, v1                                // 000000002ACC: 260202FF 000003FF
	v_and_b32_e32 v0, 0x3ff, v0                                // 000000002AD4: 260000FF 000003FF
	v_lshrrev_b32_e32 v3, 6, v0                                // 000000002ADC: 20060086
	v_and_b32_e32 v0, 63, v0                                   // 000000002AE0: 260000BF
	s_mov_b32 s2, s2                                           // 000000002AE4: BE820002
	s_mov_b32 s3, s3                                           // 000000002AE8: BE830003
	s_mov_b32 s4, s4                                           // 000000002AEC: BE840004
	v_readfirstlane_b32 s7, v3                                 // 000000002AF0: 7E0E0503
	s_waitcnt lgkmcnt(0)                                       // 000000002AF4: BF8CC07F
	s_and_b32 s49, s49, 0xffff                                 // 000000002AF8: 8631FF31 0000FFFF
	s_load_dword s48, s[48:49], 0x0                            // 000000002B00: C0020C18 00000000
	s_and_b32 s45, s45, 0xffff                                 // 000000002B08: 862DFF2D 0000FFFF
	s_and_b32 s9, s9, 0xffff                                   // 000000002B10: 8609FF09 0000FFFF
	s_mul_i32 s60, s66, s68                                    // 000000002B18: 923C4442
	s_mul_i32 s61, s66, 4                                      // 000000002B1C: 923D8442
	s_mov_b32 s22, s60                                         // 000000002B20: BE96003C
	s_mov_b32 s26, -16                                         // 000000002B24: BE9A00D0
	s_mov_b32 s30, s61                                         // 000000002B28: BE9E003D
	s_mov_b32 s14, 0x80                                        // 000000002B2C: BE8E00FF 00000080
	s_mov_b32 s38, -16                                         // 000000002B34: BEA600D0
	s_mov_b32 s10, -16                                         // 000000002B38: BE8A00D0
	s_mov_b32 s34, 0x100                                       // 000000002B3C: BEA200FF 00000100
	s_mov_b32 s23, 0x20000                                     // 000000002B44: BE9700FF 00020000
	s_mov_b32 s27, 0x20000                                     // 000000002B4C: BE9B00FF 00020000
	s_mov_b32 s31, 0x20000                                     // 000000002B54: BE9F00FF 00020000
	s_mov_b32 s35, 0x20000                                     // 000000002B5C: BEA300FF 00020000
	s_mov_b32 s15, 0x20000                                     // 000000002B64: BE8F00FF 00020000
	s_mov_b32 s39, 0x20000                                     // 000000002B6C: BEA700FF 00020000
	s_mov_b32 s11, 0x20000                                     // 000000002B74: BE8B00FF 00020000
	s_and_b32 s21, s21, 0xffff                                 // 000000002B7C: 8615FF15 0000FFFF
	s_and_b32 s25, s25, 0xffff                                 // 000000002B84: 8619FF19 0000FFFF
	s_and_b32 s29, s29, 0xffff                                 // 000000002B8C: 861DFF1D 0000FFFF
	s_and_b32 s33, s33, 0xffff                                 // 000000002B94: 8621FF21 0000FFFF
	s_and_b32 s13, s13, 0xffff                                 // 000000002B9C: 860DFF0D 0000FFFF
	s_and_b32 s37, s37, 0xffff                                 // 000000002BA4: 8625FF25 0000FFFF
	s_or_b32 s21, s21, 0x40000                                 // 000000002BAC: 8715FF15 00040000
	s_or_b32 s25, s25, 0x40000                                 // 000000002BB4: 8719FF19 00040000
	s_or_b32 s29, s29, 0x40000                                 // 000000002BBC: 871DFF1D 00040000
	s_or_b32 s33, s33, 0x40000                                 // 000000002BC4: 8721FF21 00040000
	s_or_b32 s13, s13, 0x40000                                 // 000000002BCC: 870DFF0D 00040000
	s_or_b32 s37, s37, 0x40000                                 // 000000002BD4: 8725FF25 00040000
	v_accvgpr_write_b32 a47, 0                                 // 000000002BDC: D3D9402F 18000080
	v_mov_b32_e32 v59, 0                                       // 000000002BE4: 7E760280
	s_waitcnt lgkmcnt(0)                                       // 000000002BE8: BF8CC07F
	s_mul_i32 s60, s3, 32                                      // 000000002BEC: 923CA003
	s_cmp_lt_i32 s60, s48                                      // 000000002BF0: BF04303C
	s_cbranch_scc0 label_0A49                                  // 000000002BF4: BF8409C8
	s_mov_b32 s80, 0                                           // 000000002BF8: BED00080
	s_lshr_b32 s81, s64, s88                                   // 000000002BFC: 8F515840
	s_mul_i32 s60, s3, 4                                       // 000000002C00: 923C8403
	s_add_u32 s44, s60, s44                                    // 000000002C04: 802C2C3C
	s_addc_u32 s45, 0, s45                                     // 000000002C08: 822D2D80
	s_load_dword s5, s[44:45], 0x0                             // 000000002C0C: C0020156 00000000
	s_mul_i32 s60, s3, 32                                      // 000000002C14: 923CA003
	s_mul_i32 s60, 4, s60                                      // 000000002C18: 923C3C84
	s_add_u32 s12, s60, s12                                    // 000000002C1C: 800C0C3C
	s_addc_u32 s13, 0, s13                                     // 000000002C20: 820D0D80
	v_and_b32_e32 v4, 15, v0                                   // 000000002C24: 2608008F
	v_lshlrev_b32_e32 v4, 2, v4                                // 000000002C28: 24080882
	buffer_load_dword v28, v4, s[12:15], 0 offen               // 000000002C2C: E0501000 80031C04
	v_add_u32_e32 v4, 64, v4                                   // 000000002C34: 680808C0
	buffer_load_dword v29, v4, s[12:15], 0 offen               // 000000002C38: E0501000 80031D04
	v_add_u32_e32 v4, 64, v4                                   // 000000002C40: 680808C0
	s_mul_i32 s60, 4, s7                                       // 000000002C44: 923C0784
	v_lshlrev_b32_e32 v4, 4, v0                                // 000000002C48: 24080084
	v_add_u32_e32 v4, s60, v4                                  // 000000002C4C: 6808083C
	buffer_load_dword v3, v4, s[12:15], 0 offen                // 000000002C50: E0501000 80030304
	v_mov_b32_e32 v44, 0                                       // 000000002C58: 7E580280
	v_mov_b32_e32 v52, 0                                       // 000000002C5C: 7E680280
	v_mov_b32_e32 v45, 0                                       // 000000002C60: 7E5A0280
	v_mov_b32_e32 v53, 0                                       // 000000002C64: 7E6A0280
	v_mov_b32_e32 v46, 0                                       // 000000002C68: 7E5C0280
	v_mov_b32_e32 v54, 0                                       // 000000002C6C: 7E6C0280
	v_mov_b32_e32 v47, 0                                       // 000000002C70: 7E5E0280
	v_mov_b32_e32 v55, 0                                       // 000000002C74: 7E6E0280
	v_mov_b32_e32 v48, 0                                       // 000000002C78: 7E600280
	v_mov_b32_e32 v56, 0                                       // 000000002C7C: 7E700280
	v_mov_b32_e32 v49, 0                                       // 000000002C80: 7E620280
	v_mov_b32_e32 v57, 0                                       // 000000002C84: 7E720280
	v_mov_b32_e32 v50, 0                                       // 000000002C88: 7E640280
	v_mov_b32_e32 v58, 0                                       // 000000002C8C: 7E740280
	v_mov_b32_e32 v51, 0                                       // 000000002C90: 7E660280
	v_mov_b32_e32 v59, 0                                       // 000000002C94: 7E760280
	s_mul_i32 s60, s2, 0x80                                    // 000000002C98: 923CFF02 00000080
	s_cmp_eq_u32 s88, 0                                        // 000000002CA0: BF068058
	s_cselect_b32 s61, 1, 2                                    // 000000002CA4: 853D8281
	s_mul_i32 s60, s60, s61                                    // 000000002CA8: 923C3D3C
	s_mov_b32 s90, s8                                          // 000000002CAC: BEDA0008
	s_mov_b32 s91, s9                                          // 000000002CB0: BEDB0009
	s_add_u32 s8, s60, s8                                      // 000000002CB4: 8008083C
	s_addc_u32 s9, 0, s9                                       // 000000002CB8: 82090980
	v_lshrrev_b32_e32 v4, 4, v0                                // 000000002CBC: 20080084
	v_mul_lo_u32 v20, 34, v4                                   // 000000002CC0: D2850014 000208A2
	v_and_b32_e32 v4, 15, v0                                   // 000000002CC8: 2608008F
	v_mul_lo_u32 v5, 2, v4                                     // 000000002CCC: D2850005 00020882
	v_add_u32_e32 v20, v5, v20                                 // 000000002CD4: 68282905
	s_mul_i32 s60, s7, 0x88                                    // 000000002CD8: 923CFF07 00000088
	v_add_u32_e32 v20, s60, v20                                // 000000002CE0: 6828283C
	v_lshlrev_b32_e32 v20, 2, v20                              // 000000002CE4: 24282882
	v_and_b32_e32 v4, 31, v0                                   // 000000002CE8: 2608009F
	v_lshrrev_b32_e32 v4, 1, v4                                // 000000002CEC: 20080881
	v_mul_lo_u32 v21, 34, v4                                   // 000000002CF0: D2850015 000208A2
	v_lshrrev_b32_e32 v4, 5, v0                                // 000000002CF8: 20080085
	v_mul_lo_u32 v4, 8, v4                                     // 000000002CFC: D2850004 00020888
	v_add_u32_e32 v21, v21, v4                                 // 000000002D04: 682A0915
	v_and_b32_e32 v5, 1, v0                                    // 000000002D08: 260A0081
	v_add_u32_e32 v21, v5, v21                                 // 000000002D0C: 682A2B05
	s_mul_i32 s60, s7, 2                                       // 000000002D10: 923C8207
	v_add_u32_e32 v21, s60, v21                                // 000000002D14: 682A2A3C
	v_lshlrev_b32_e32 v21, 2, v21                              // 000000002D18: 242A2A82
	s_mul_i32 s60, s7, 0x420                                   // 000000002D1C: 923CFF07 00000420
	s_add_u32 s48, 0, s60                                      // 000000002D24: 80303C80
	s_add_u32 s49, 0x1080, s48                                 // 000000002D28: 803130FF 00001080
	v_lshrrev_b32_e32 v4, 4, v0                                // 000000002D30: 20080084
	v_lshlrev_b32_e32 v5, 2, v4                                // 000000002D34: 240A0882
	v_and_b32_e32 v4, 15, v0                                   // 000000002D38: 2608008F
	v_lshrrev_b32_e32 v6, 2, v4                                // 000000002D3C: 200C0882
	v_lshlrev_b32_e32 v6, 5, v6                                // 000000002D40: 240C0C85
	v_add_u32_e32 v5, v6, v5                                   // 000000002D44: 680A0B06
	v_and_b32_e32 v4, 3, v0                                    // 000000002D48: 26080083
	v_mul_u32_u24_e32 v6, 0x108, v4                            // 000000002D4C: 100C08FF 00000108
	v_add_u32_e32 v5, v6, v5                                   // 000000002D54: 680A0B06
	v_lshlrev_b32_e32 v2, 2, v5                                // 000000002D58: 24040A82
	s_waitcnt lgkmcnt(0)                                       // 000000002D5C: BF8CC07F
	s_mul_i32 s60, s2, 64                                      // 000000002D60: 923CC002
	s_mul_i32 s60, s60, s69                                    // 000000002D64: 923C453C
	s_mul_i32 s61, s5, s72                                     // 000000002D68: 923D4805
	s_add_u32 s60, s61, s60                                    // 000000002D6C: 803C3C3D
	s_add_u32 s24, s60, s24                                    // 000000002D70: 8018183C
	s_addc_u32 s25, 0, s25                                     // 000000002D74: 82191980
	s_lshr_b32 s60, s64, s88                                   // 000000002D78: 8F3C5840
	s_mul_i32 s60, s4, s60                                     // 000000002D7C: 923C3C04
	s_lshr_b32 s60, s60, 7                                     // 000000002D80: 8F3C873C
	s_mul_i32 s60, s60, 0x800                                  // 000000002D84: 923CFF3C 00000800
	s_add_u32 s24, s60, s24                                    // 000000002D8C: 8018183C
	s_addc_u32 s25, 0, s25                                     // 000000002D90: 82191980
	s_lshr_b32 s60, s69, s88                                   // 000000002D94: 8F3C5845
	s_mul_i32 s60, s4, s60                                     // 000000002D98: 923C3C04
	s_add_u32 s20, s60, s20                                    // 000000002D9C: 8014143C
	s_addc_u32 s21, 0, s21                                     // 000000002DA0: 82151580
	s_mul_i32 s60, s7, 16                                      // 000000002DA4: 923C9007
	s_mul_i32 s60, s60, s69                                    // 000000002DA8: 923C453C
	v_lshlrev_b32_e32 v40, 4, v0                               // 000000002DAC: 24500084
	v_add_u32_e32 v40, s60, v40                                // 000000002DB0: 6850503C
	s_mul_i32 s60, 64, s69                                     // 000000002DB4: 923C45C0
	s_mov_b32 s84, s24                                         // 000000002DB8: BED40018
	s_mov_b32 s85, s25                                         // 000000002DBC: BED50019
	s_mov_b32 s86, s26                                         // 000000002DC0: BED6001A
	s_mov_b32 s87, s27                                         // 000000002DC4: BED7001B
	s_mul_i32 s60, s69, s65                                    // 000000002DC8: 923C4145
	s_add_u32 s84, s60, s84                                    // 000000002DCC: 8054543C
	s_addc_u32 s85, 0, s85                                     // 000000002DD0: 82555580
	v_lshrrev_b32_e32 v4, 4, v0                                // 000000002DD4: 20080084
	v_lshlrev_b32_e32 v5, 2, v4                                // 000000002DD8: 240A0882
	v_and_b32_e32 v4, 15, v0                                   // 000000002DDC: 2608008F
	v_lshrrev_b32_e32 v6, 2, v4                                // 000000002DE0: 200C0882
	v_lshlrev_b32_e32 v6, 6, v6                                // 000000002DE4: 240C0C86
	v_add_u32_e32 v5, v6, v5                                   // 000000002DE8: 680A0B06
	v_and_b32_e32 v4, 3, v0                                    // 000000002DEC: 26080083
	v_add_u32_e32 v5, v4, v5                                   // 000000002DF0: 680A0B04
	v_lshlrev_b32_e32 v22, 2, v5                               // 000000002DF4: 242C0A82
	s_mul_i32 s60, s7, 16                                      // 000000002DF8: 923C9007
	s_mul_i32 s60, s60, 4                                      // 000000002DFC: 923C843C
	v_add_u32_e32 v22, s60, v22                                // 000000002E00: 682C2C3C
	s_mul_i32 s60, s2, 64                                      // 000000002E04: 923CC002
	s_mul_i32 s60, s60, 4                                      // 000000002E08: 923C843C
	s_mul_i32 s61, s5, s74                                     // 000000002E0C: 923D4A05
	s_add_u32 s61, s61, s60                                    // 000000002E10: 803D3C3D
	s_add_u32 s32, s61, s32                                    // 000000002E14: 8020203D
	s_addc_u32 s33, 0, s33                                     // 000000002E18: 82212180
	s_mov_b32 s57, 0x80                                        // 000000002E1C: BEB900FF 00000080
	s_mov_b32 s58, 0x800                                       // 000000002E24: BEBA00FF 00000800
	s_mov_b32 s83, s58                                         // 000000002E2C: BED3003A
	s_mov_b32 s52, 0x7060302                                   // 000000002E30: BEB400FF 07060302
	s_mov_b32 s53, 0x400                                       // 000000002E38: BEB500FF 00000400
	s_mov_b32 s54, 0x40100                                     // 000000002E40: BEB600FF 00040100
	s_mov_b32 s55, 0x4020100                                   // 000000002E48: BEB700FF 04020100
	s_mov_b32 s6, 0x3fb8aa3b                                   // 000000002E50: BE8600FF 3FB8AA3B
	s_mov_b32 s78, 0xbd92220c                                  // 000000002E58: BECE00FF BD92220C
	s_mov_b32 s79, 0xbd92220c                                  // 000000002E60: BECF00FF BD92220C
	s_mov_b32 m0, s48                                          // 000000002E68: BEFC0030
	v_mov_b32_e32 v1, 0xbfcc4231                               // 000000002E6C: 7E0202FF BFCC4231
	v_mov_b32_e32 v17, 0xffff0000                              // 000000002E74: 7E2202FF FFFF0000
	v_mov_b32_e32 v18, 0x7fff0000                              // 000000002E7C: 7E2402FF 7FFF0000
	v_mov_b32_e32 v19, 0x7fff                                  // 000000002E84: 7E2602FF 00007FFF
	s_waitcnt vmcnt(0) expcnt(0) lgkmcnt(0)                    // 000000002E8C: BF8C0000
	v_lshrrev_b32_e32 v4, 5, v0                                // 000000002E90: 20080085
	v_xor_b32_e32 v5, 1, v4                                    // 000000002E94: 2A0A0881
	v_readlane_b32 s82, v3, 0                                  // 000000002E98: D2890052 00010103
	s_and_b32 s82, s82, 0xffffff                               // 000000002EA0: 8652FF52 00FFFFFF
	v_mul_lo_u32 v6, v5, s82                                   // 000000002EA8: D2850006 0000A505
	v_readlane_b32 s82, v3, 1                                  // 000000002EB0: D2890052 00010303
	s_and_b32 s82, s82, 0xffffff                               // 000000002EB8: 8652FF52 00FFFFFF
	v_mul_lo_u32 v7, v4, s82                                   // 000000002EC0: D2850007 0000A504
	v_add_u32_e32 v36, v6, v7                                  // 000000002EC8: 68480F06
	v_mul_lo_u32 v36, v36, s68                                 // 000000002ECC: D2850024 00008924
	v_readlane_b32 s82, v3, 2                                  // 000000002ED4: D2890052 00010503
	s_and_b32 s82, s82, 0xffffff                               // 000000002EDC: 8652FF52 00FFFFFF
	v_mul_lo_u32 v6, v5, s82                                   // 000000002EE4: D2850006 0000A505
	v_readlane_b32 s82, v3, 3                                  // 000000002EEC: D2890052 00010703
	s_and_b32 s82, s82, 0xffffff                               // 000000002EF4: 8652FF52 00FFFFFF
	v_mul_lo_u32 v7, v4, s82                                   // 000000002EFC: D2850007 0000A504
	v_add_u32_e32 v37, v6, v7                                  // 000000002F04: 684A0F06
	v_mul_lo_u32 v37, v37, s68                                 // 000000002F08: D2850025 00008925
	v_readlane_b32 s82, v3, 4                                  // 000000002F10: D2890052 00010903
	s_and_b32 s82, s82, 0xffffff                               // 000000002F18: 8652FF52 00FFFFFF
	v_mul_lo_u32 v6, v5, s82                                   // 000000002F20: D2850006 0000A505
	v_readlane_b32 s82, v3, 5                                  // 000000002F28: D2890052 00010B03
	s_and_b32 s82, s82, 0xffffff                               // 000000002F30: 8652FF52 00FFFFFF
	v_mul_lo_u32 v7, v4, s82                                   // 000000002F38: D2850007 0000A504
	v_add_u32_e32 v38, v6, v7                                  // 000000002F40: 684C0F06
	v_mul_lo_u32 v38, v38, s68                                 // 000000002F44: D2850026 00008926
	v_readlane_b32 s82, v3, 6                                  // 000000002F4C: D2890052 00010D03
	s_and_b32 s82, s82, 0xffffff                               // 000000002F54: 8652FF52 00FFFFFF
	v_mul_lo_u32 v6, v5, s82                                   // 000000002F5C: D2850006 0000A505
	v_readlane_b32 s82, v3, 7                                  // 000000002F64: D2890052 00010F03
	s_and_b32 s82, s82, 0xffffff                               // 000000002F6C: 8652FF52 00FFFFFF
	v_mul_lo_u32 v7, v4, s82                                   // 000000002F74: D2850007 0000A504
	v_add_u32_e32 v39, v6, v7                                  // 000000002F7C: 684E0F06
	v_mul_lo_u32 v39, v39, s68                                 // 000000002F80: D2850027 00008927
	v_and_b32_e32 v4, 31, v0                                   // 000000002F88: 2608009F
	v_lshlrev_b32_e32 v4, 2, v4                                // 000000002F8C: 24080882
	v_add_u32_e32 v36, v36, v4                                 // 000000002F90: 68480924
	v_add_u32_e32 v37, v37, v4                                 // 000000002F94: 684A0925
	v_add_u32_e32 v38, v38, v4                                 // 000000002F98: 684C0926
	v_add_u32_e32 v39, v39, v4                                 // 000000002F9C: 684E0927
	v_and_b32_e32 v28, 0xffffff, v28                           // 000000002FA0: 263838FF 00FFFFFF
	v_lshlrev_b32_e32 v28, 2, v28                              // 000000002FA8: 24383882
	v_and_b32_e32 v29, 0xffffff, v29                           // 000000002FAC: 263A3AFF 00FFFFFF
	v_lshlrev_b32_e32 v29, 2, v29                              // 000000002FB4: 243A3A82
	s_lshl_b32 s3, s66, 2                                      // 000000002FB8: 8E038242
	buffer_load_dword v30, v28, s[28:31], 0 offen              // 000000002FBC: E0501000 80071E1C
	buffer_load_dword v31, v29, s[28:31], 0 offen              // 000000002FC4: E0501000 80071F1D
	buffer_load_dword v24, v22, s[32:35], 0 offen              // 000000002FCC: E0501000 80081816
	s_mul_i32 s60, 4, s65                                      // 000000002FD4: 923C4184
	s_add_u32 s32, s60, s32                                    // 000000002FD8: 8020203C
	s_addc_u32 s33, 0, s33                                     // 000000002FDC: 82212180
	buffer_load_dword v26, v22, s[32:35], 0 offen              // 000000002FE0: E0501000 80081A16
	buffer_load_dword v36, s[20:23], 0 offen lds               // 000000002FE8: E0511000 80050024
	s_add_u32 m0, 0x100, s48                                   // 000000002FF0: 807C30FF 00000100
	buffer_load_dword v37, s[20:23], 0 offen lds               // 000000002FF8: E0511000 80050025
	s_add_u32 m0, 0x200, s48                                   // 000000003000: 807C30FF 00000200
	buffer_load_dword v38, s[20:23], 0 offen lds               // 000000003008: E0511000 80050026
	s_add_u32 m0, 0x300, s48                                   // 000000003010: 807C30FF 00000300
	buffer_load_dword v39, s[20:23], 0 offen lds               // 000000003018: E0511000 80050027
	s_add_u32 m0, 0, s49                                       // 000000003020: 807C3180
	s_add_u32 s20, s57, s20                                    // 000000003024: 80141439
	s_addc_u32 s21, 0, s21                                     // 000000003028: 82151580
	buffer_load_dword v36, s[20:23], 0 offen lds               // 00000000302C: E0511000 80050024
	s_add_u32 m0, 0x100, s49                                   // 000000003034: 807C31FF 00000100
	buffer_load_dword v37, s[20:23], 0 offen lds               // 00000000303C: E0511000 80050025
	s_add_u32 m0, 0x200, s49                                   // 000000003044: 807C31FF 00000200
	buffer_load_dword v38, s[20:23], 0 offen lds               // 00000000304C: E0511000 80050026
	s_add_u32 m0, 0x300, s49                                   // 000000003054: 807C31FF 00000300
	buffer_load_dword v39, s[20:23], 0 offen lds               // 00000000305C: E0511000 80050027
	s_add_u32 m0, 0, s48                                       // 000000003064: 807C3080
	s_add_u32 s20, s57, s20                                    // 000000003068: 80141439
	s_addc_u32 s21, 0, s21                                     // 00000000306C: 82151580
	buffer_load_dwordx4 a[32:35], v40, s[24:27], 0 offen       // 000000003070: E05C1000 80862028
	buffer_load_dwordx4 a[36:39], v40, s[24:27], 0 offen offset:1024// 000000003078: E05C1400 80862428
	s_add_u32 s24, s58, s24                                    // 000000003080: 8018183A
	s_addc_u32 s25, 0, s25                                     // 000000003084: 82191980
	s_waitcnt vmcnt(6)                                         // 000000003088: BF8C0F76
	s_barrier                                                  // 00000000308C: BF8A0000
	ds_read_b128 a[0:3], v2                                    // 000000003090: DBFE0000 00000002
	ds_read_b128 a[4:7], v2 offset:64                          // 000000003098: DBFE0040 04000002
	ds_read_b128 a[8:11], v2 offset:512                        // 0000000030A0: DBFE0200 08000002
	ds_read_b128 a[12:15], v2 offset:576                       // 0000000030A8: DBFE0240 0C000002
	s_cmp_lt_i32 s7, 2                                         // 0000000030B0: BF048207
	s_cbranch_scc0 label_05FD                                  // 0000000030B4: BF84044C

00000000000030b8 <label_01AE>:
	s_waitcnt vmcnt(0) lgkmcnt(0)                              // 0000000030B8: BF8C0070
	s_barrier                                                  // 0000000030BC: BF8A0000
	v_mfma_f32_16x16x32_fp8_fp8 v[44:47], a[32:33], a[0:1], v[44:47]// 0000000030C0: D3F3002C 1CB20120
	v_mfma_f32_16x16x32_fp8_fp8 v[44:47], a[34:35], a[2:3], v[44:47]// 0000000030C8: D3F3002C 1CB20522
	buffer_load_dwordx4 a[40:43], v40, s[84:87], 0 offen       // 0000000030D0: E05C1000 80952828
	v_mfma_f32_16x16x32_fp8_fp8 v[44:47], a[36:37], a[4:5], v[44:47]// 0000000030D8: D3F3002C 1CB20924
	v_mfma_f32_16x16x32_fp8_fp8 v[44:47], a[38:39], a[6:7], v[44:47]// 0000000030E0: D3F3002C 1CB20D26
	v_mfma_f32_16x16x32_fp8_fp8 v[48:51], a[32:33], a[8:9], v[48:51]// 0000000030E8: D3F30030 1CC21120
	v_mfma_f32_16x16x32_fp8_fp8 v[48:51], a[34:35], a[10:11], v[48:51]// 0000000030F0: D3F30030 1CC21522
	buffer_load_dwordx4 a[44:47], v40, s[84:87], 0 offen offset:1024// 0000000030F8: E05C1400 80952C28
	buffer_load_dword v36, s[20:23], 0 offen lds               // 000000003100: E0511000 80050024
	s_add_u32 m0, 0x100, s48                                   // 000000003108: 807C30FF 00000100
	s_add_u32 s60, 0x80, s80                                   // 000000003110: 803C50FF 00000080
	s_cmp_lt_u32 s60, s81                                      // 000000003118: BF0A513C
	s_cselect_b32 s83, s83, 0                                  // 00000000311C: 85538053
	v_mfma_f32_16x16x32_fp8_fp8 v[48:51], a[36:37], a[12:13], v[48:51]// 000000003120: D3F30030 1CC21924
	v_mfma_f32_16x16x32_fp8_fp8 v[48:51], a[38:39], a[14:15], v[48:51]// 000000003128: D3F30030 1CC21D26
	buffer_load_dword v37, s[20:23], 0 offen lds               // 000000003130: E0511000 80050025
	s_add_u32 m0, 0x200, s48                                   // 000000003138: 807C30FF 00000200
	buffer_load_dword v38, s[20:23], 0 offen lds               // 000000003140: E0511000 80050026
	s_add_u32 m0, 0x300, s48                                   // 000000003148: 807C30FF 00000300
	buffer_load_dword v39, s[20:23], 0 offen lds               // 000000003150: E0511000 80050027
	s_add_u32 m0, 0, s49                                       // 000000003158: 807C3180
	s_waitcnt vmcnt(4)                                         // 00000000315C: BF8C0F74
	v_mfma_f32_16x16x32_fp8_fp8 v[52:55], a[40:41], a[0:1], v[52:55]// 000000003160: D3F30034 1CD20128
	v_mfma_f32_16x16x32_fp8_fp8 v[52:55], a[42:43], a[2:3], v[52:55]// 000000003168: D3F30034 1CD2052A
	buffer_load_dwordx4 a[32:35], v40, s[24:27], 0 offen       // 000000003170: E05C1000 80862028
	v_mfma_f32_16x16x32_fp8_fp8 v[52:55], a[44:45], a[4:5], v[52:55]// 000000003178: D3F30034 1CD2092C
	s_add_u32 s60, 0x180, s80                                  // 000000003180: 803C50FF 00000180
	s_cmp_lt_u32 s60, s81                                      // 000000003188: BF0A513C
	s_cselect_b32 s57, s57, 0                                  // 00000000318C: 85398039
	v_mfma_f32_16x16x32_fp8_fp8 v[52:55], a[46:47], a[6:7], v[52:55]// 000000003190: D3F30034 1CD20D2E
	ds_read_b128 a[16:19], v2 offset:4224                      // 000000003198: DBFE1080 10000002
	ds_read_b128 a[20:23], v2 offset:4288                      // 0000000031A0: DBFE10C0 14000002
	s_add_u32 s60, 0x100, s80                                  // 0000000031A8: 803C50FF 00000100
	s_cmp_lt_u32 s60, s81                                      // 0000000031B0: BF0A513C
	s_cselect_b32 s58, s58, 0                                  // 0000000031B4: 853A803A
	v_mfma_f32_16x16x32_fp8_fp8 v[56:59], a[40:41], a[8:9], v[56:59]// 0000000031B8: D3F30038 1CE21128
	v_mfma_f32_16x16x32_fp8_fp8 v[56:59], a[42:43], a[10:11], v[56:59]// 0000000031C0: D3F30038 1CE2152A
	buffer_load_dwordx4 a[36:39], v40, s[24:27], 0 offen offset:1024// 0000000031C8: E05C1400 80862428
	s_add_u32 s20, s57, s20                                    // 0000000031D0: 80141439
	s_addc_u32 s21, 0, s21                                     // 0000000031D4: 82151580
	v_mfma_f32_16x16x32_fp8_fp8 v[56:59], a[44:45], a[12:13], v[56:59]// 0000000031D8: D3F30038 1CE2192C
	s_add_u32 s84, s83, s84                                    // 0000000031E0: 80545453
	s_addc_u32 s85, 0, s85                                     // 0000000031E4: 82555580
	v_mfma_f32_16x16x32_fp8_fp8 v[56:59], a[46:47], a[14:15], v[56:59]// 0000000031E8: D3F30038 1CE21D2E
	ds_read_b128 a[24:27], v2 offset:4736                      // 0000000031F0: DBFE1280 18000002
	ds_read_b128 a[28:31], v2 offset:4800                      // 0000000031F8: DBFE12C0 1C000002
	s_add_u32 s24, s58, s24                                    // 000000003200: 8018183A
	s_addc_u32 s25, 0, s25                                     // 000000003204: 82191980
	s_addk_i32 s80, 0x80                                       // 000000003208: B7500080
	s_cmp_lt_i32 s80, s81                                      // 00000000320C: BF045150
	s_cbranch_scc0 label_025D                                  // 000000003210: BF840058
	s_waitcnt vmcnt(0) lgkmcnt(0)                              // 000000003214: BF8C0070
	s_barrier                                                  // 000000003218: BF8A0000
	v_mfma_f32_16x16x32_fp8_fp8 v[44:47], a[32:33], a[16:17], v[44:47]// 00000000321C: D3F3002C 1CB22120
	v_mfma_f32_16x16x32_fp8_fp8 v[44:47], a[34:35], a[18:19], v[44:47]// 000000003224: D3F3002C 1CB22522
	buffer_load_dwordx4 a[40:43], v40, s[84:87], 0 offen       // 00000000322C: E05C1000 80952828
	v_mfma_f32_16x16x32_fp8_fp8 v[44:47], a[36:37], a[20:21], v[44:47]// 000000003234: D3F3002C 1CB22924
	v_mfma_f32_16x16x32_fp8_fp8 v[44:47], a[38:39], a[22:23], v[44:47]// 00000000323C: D3F3002C 1CB22D26
	v_mfma_f32_16x16x32_fp8_fp8 v[48:51], a[32:33], a[24:25], v[48:51]// 000000003244: D3F30030 1CC23120
	v_mfma_f32_16x16x32_fp8_fp8 v[48:51], a[34:35], a[26:27], v[48:51]// 00000000324C: D3F30030 1CC23522
	buffer_load_dwordx4 a[44:47], v40, s[84:87], 0 offen offset:1024// 000000003254: E05C1400 80952C28
	buffer_load_dword v36, s[20:23], 0 offen lds               // 00000000325C: E0511000 80050024
	s_add_u32 m0, 0x100, s49                                   // 000000003264: 807C31FF 00000100
	s_add_u32 s60, 0x80, s80                                   // 00000000326C: 803C50FF 00000080
	s_cmp_lt_u32 s60, s81                                      // 000000003274: BF0A513C
	s_cselect_b32 s83, s83, 0                                  // 000000003278: 85538053
	v_mfma_f32_16x16x32_fp8_fp8 v[48:51], a[36:37], a[28:29], v[48:51]// 00000000327C: D3F30030 1CC23924
	v_mfma_f32_16x16x32_fp8_fp8 v[48:51], a[38:39], a[30:31], v[48:51]// 000000003284: D3F30030 1CC23D26
	buffer_load_dword v37, s[20:23], 0 offen lds               // 00000000328C: E0511000 80050025
	s_add_u32 m0, 0x200, s49                                   // 000000003294: 807C31FF 00000200
	buffer_load_dword v38, s[20:23], 0 offen lds               // 00000000329C: E0511000 80050026
	s_add_u32 m0, 0x300, s49                                   // 0000000032A4: 807C31FF 00000300
	buffer_load_dword v39, s[20:23], 0 offen lds               // 0000000032AC: E0511000 80050027
	s_add_u32 m0, 0, s48                                       // 0000000032B4: 807C3080
	s_waitcnt vmcnt(4)                                         // 0000000032B8: BF8C0F74
	v_mfma_f32_16x16x32_fp8_fp8 v[52:55], a[40:41], a[16:17], v[52:55]// 0000000032BC: D3F30034 1CD22128
	v_mfma_f32_16x16x32_fp8_fp8 v[52:55], a[42:43], a[18:19], v[52:55]// 0000000032C4: D3F30034 1CD2252A
	buffer_load_dwordx4 a[32:35], v40, s[24:27], 0 offen       // 0000000032CC: E05C1000 80862028
	v_mfma_f32_16x16x32_fp8_fp8 v[52:55], a[44:45], a[20:21], v[52:55]// 0000000032D4: D3F30034 1CD2292C
	s_add_u32 s60, 0x180, s80                                  // 0000000032DC: 803C50FF 00000180
	s_cmp_lt_u32 s60, s81                                      // 0000000032E4: BF0A513C
	s_cselect_b32 s57, s57, 0                                  // 0000000032E8: 85398039
	v_mfma_f32_16x16x32_fp8_fp8 v[52:55], a[46:47], a[22:23], v[52:55]// 0000000032EC: D3F30034 1CD22D2E
	ds_read_b128 a[0:3], v2                                    // 0000000032F4: DBFE0000 00000002
	ds_read_b128 a[4:7], v2 offset:64                          // 0000000032FC: DBFE0040 04000002
	s_add_u32 s60, 0x100, s80                                  // 000000003304: 803C50FF 00000100
	s_cmp_lt_u32 s60, s81                                      // 00000000330C: BF0A513C
	s_cselect_b32 s58, s58, 0                                  // 000000003310: 853A803A
	v_mfma_f32_16x16x32_fp8_fp8 v[56:59], a[40:41], a[24:25], v[56:59]// 000000003314: D3F30038 1CE23128
	v_mfma_f32_16x16x32_fp8_fp8 v[56:59], a[42:43], a[26:27], v[56:59]// 00000000331C: D3F30038 1CE2352A
	buffer_load_dwordx4 a[36:39], v40, s[24:27], 0 offen offset:1024// 000000003324: E05C1400 80862428
	s_add_u32 s20, s57, s20                                    // 00000000332C: 80141439
	s_addc_u32 s21, 0, s21                                     // 000000003330: 82151580
	v_mfma_f32_16x16x32_fp8_fp8 v[56:59], a[44:45], a[28:29], v[56:59]// 000000003334: D3F30038 1CE2392C
	s_add_u32 s84, s83, s84                                    // 00000000333C: 80545453
	s_addc_u32 s85, 0, s85                                     // 000000003340: 82555580
	v_mfma_f32_16x16x32_fp8_fp8 v[56:59], a[46:47], a[30:31], v[56:59]// 000000003344: D3F30038 1CE23D2E
	ds_read_b128 a[8:11], v2 offset:512                        // 00000000334C: DBFE0200 08000002
	ds_read_b128 a[12:15], v2 offset:576                       // 000000003354: DBFE0240 0C000002
	s_add_u32 s24, s58, s24                                    // 00000000335C: 8018183A
	s_addc_u32 s25, 0, s25                                     // 000000003360: 82191980
	s_addk_i32 s80, 0x80                                       // 000000003364: B7500080
	s_cmp_lt_i32 s80, s81                                      // 000000003368: BF045150
	s_cbranch_scc0 label_025D                                  // 00000000336C: BF840001
	s_branch label_01AE                                        // 000000003370: BF82FF51

0000000000003374 <label_025D>:
	v_mul_f32_dpp v44, v24, v44 row_newbcast:0 row_mask:0xf bank_mask:0xf// 000000003374: 0A5858FA FF015018
	v_mul_f32_dpp v45, v24, v45 row_newbcast:1 row_mask:0xf bank_mask:0xf// 00000000337C: 0A5A5AFA FF015118
	v_mul_f32_dpp v46, v24, v46 row_newbcast:2 row_mask:0xf bank_mask:0xf// 000000003384: 0A5C5CFA FF015218
	v_mul_f32_dpp v47, v24, v47 row_newbcast:3 row_mask:0xf bank_mask:0xf// 00000000338C: 0A5E5EFA FF015318
	v_mul_f32_dpp v48, v24, v48 row_newbcast:0 row_mask:0xf bank_mask:0xf// 000000003394: 0A6060FA FF015018
	v_mul_f32_dpp v49, v24, v49 row_newbcast:1 row_mask:0xf bank_mask:0xf// 00000000339C: 0A6262FA FF015118
	v_mul_f32_dpp v50, v24, v50 row_newbcast:2 row_mask:0xf bank_mask:0xf// 0000000033A4: 0A6464FA FF015218
	v_mul_f32_dpp v51, v24, v51 row_newbcast:3 row_mask:0xf bank_mask:0xf// 0000000033AC: 0A6666FA FF015318
	v_mul_f32_dpp v52, v26, v52 row_newbcast:0 row_mask:0xf bank_mask:0xf// 0000000033B4: 0A6868FA FF01501A
	v_mul_f32_dpp v53, v26, v53 row_newbcast:1 row_mask:0xf bank_mask:0xf// 0000000033BC: 0A6A6AFA FF01511A
	v_mul_f32_dpp v54, v26, v54 row_newbcast:2 row_mask:0xf bank_mask:0xf// 0000000033C4: 0A6C6CFA FF01521A
	v_mul_f32_dpp v55, v26, v55 row_newbcast:3 row_mask:0xf bank_mask:0xf// 0000000033CC: 0A6E6EFA FF01531A
	v_mul_f32_dpp v56, v26, v56 row_newbcast:0 row_mask:0xf bank_mask:0xf// 0000000033D4: 0A7070FA FF01501A
	v_mul_f32_dpp v57, v26, v57 row_newbcast:1 row_mask:0xf bank_mask:0xf// 0000000033DC: 0A7272FA FF01511A
	v_mul_f32_dpp v58, v26, v58 row_newbcast:2 row_mask:0xf bank_mask:0xf// 0000000033E4: 0A7474FA FF01521A
	v_mul_f32_dpp v59, v26, v59 row_newbcast:3 row_mask:0xf bank_mask:0xf// 0000000033EC: 0A7676FA FF01531A
	v_mov_b32_e32 v4, v30                                      // 0000000033F4: 7E08031E
	v_mov_b32_e32 v5, v4                                       // 0000000033F8: 7E0A0304
	v_pk_mul_f32 v[44:45], v[4:5], v[44:45]                    // 0000000033FC: D3B1402C 18025904
	v_pk_mul_f32 v[52:53], v[4:5], v[52:53]                    // 000000003404: D3B14034 18026904
	v_pk_mul_f32 v[46:47], v[4:5], v[46:47]                    // 00000000340C: D3B1402E 18025D04
	v_pk_mul_f32 v[54:55], v[4:5], v[54:55]                    // 000000003414: D3B14036 18026D04
	v_mov_b32_e32 v4, v31                                      // 00000000341C: 7E08031F
	v_mov_b32_e32 v5, v4                                       // 000000003420: 7E0A0304
	v_pk_mul_f32 v[48:49], v[4:5], v[48:49]                    // 000000003424: D3B14030 18026104
	v_pk_mul_f32 v[56:57], v[4:5], v[56:57]                    // 00000000342C: D3B14038 18027104
	v_pk_mul_f32 v[50:51], v[4:5], v[50:51]                    // 000000003434: D3B14032 18026504
	v_pk_mul_f32 v[58:59], v[4:5], v[58:59]                    // 00000000343C: D3B1403A 18027504
	s_cmp_eq_u32 s88, 0                                        // 000000003444: BF068058
	s_cbranch_scc0 label_0428                                  // 000000003448: BF840195
	s_cmp_eq_u32 s89, 0                                        // 00000000344C: BF068059
	s_cbranch_scc1 label_02EA                                  // 000000003450: BF850055
	v_mov_b32_e32 v8, v1                                       // 000000003454: 7E100301
	v_mov_b32_e32 v9, v1                                       // 000000003458: 7E120301
	s_mov_b32 s60, s6                                          // 00000000345C: BEBC0006
	s_mov_b32 s61, s6                                          // 000000003460: BEBD0006
	v_pk_mul_f32 v[4:5], v[44:45], v[44:45]                    // 000000003464: D3B14004 1802592C
	v_pk_mul_f32 v[6:7], v[46:47], v[46:47]                    // 00000000346C: D3B14006 18025D2E
	v_pk_fma_f32 v[4:5], v[4:5], s[78:79], v[8:9]              // 000000003474: D3B04004 1C209D04
	v_pk_fma_f32 v[6:7], v[6:7], s[78:79], v[8:9]              // 00000000347C: D3B04006 1C209D06
	v_pk_mul_f32 v[4:5], v[4:5], v[44:45]                      // 000000003484: D3B14004 18025904
	v_pk_mul_f32 v[6:7], v[6:7], v[46:47]                      // 00000000348C: D3B14006 18025D06
	v_pk_mul_f32 v[4:5], v[4:5], s[60:61]                      // 000000003494: D3B14004 18007904
	v_pk_mul_f32 v[6:7], v[6:7], s[60:61]                      // 00000000349C: D3B14006 18007906
	v_exp_f32_e32 v4, v4                                       // 0000000034A4: 7E084104
	v_exp_f32_e32 v5, v5                                       // 0000000034A8: 7E0A4105
	v_exp_f32_e32 v6, v6                                       // 0000000034AC: 7E0C4106
	v_exp_f32_e32 v7, v7                                       // 0000000034B0: 7E0E4107
	v_add_f32_e64 v4, v4, 1.0                                  // 0000000034B4: D1010004 0001E504
	v_add_f32_e64 v5, v5, 1.0                                  // 0000000034BC: D1010005 0001E505
	v_add_f32_e64 v6, v6, 1.0                                  // 0000000034C4: D1010006 0001E506
	v_add_f32_e64 v7, v7, 1.0                                  // 0000000034CC: D1010007 0001E507
	v_rcp_f32_e32 v4, v4                                       // 0000000034D4: 7E084504
	v_rcp_f32_e32 v5, v5                                       // 0000000034D8: 7E0A4505
	v_rcp_f32_e32 v6, v6                                       // 0000000034DC: 7E0C4506
	v_rcp_f32_e32 v7, v7                                       // 0000000034E0: 7E0E4507
	v_mul_f32_e32 v44, v44, v4                                 // 0000000034E4: 0A58092C
	v_mul_f32_e32 v45, v45, v5                                 // 0000000034E8: 0A5A0B2D
	v_mul_f32_e32 v46, v46, v6                                 // 0000000034EC: 0A5C0D2E
	v_mul_f32_e32 v47, v47, v7                                 // 0000000034F0: 0A5E0F2F
	v_mul_f32_e32 v44, v44, v52                                // 0000000034F4: 0A58692C
	v_mul_f32_e32 v45, v45, v53                                // 0000000034F8: 0A5A6B2D
	v_mul_f32_e32 v46, v46, v54                                // 0000000034FC: 0A5C6D2E
	v_mul_f32_e32 v47, v47, v55                                // 000000003500: 0A5E6F2F
	v_pk_mul_f32 v[4:5], v[48:49], v[48:49]                    // 000000003504: D3B14004 18026130
	v_pk_mul_f32 v[6:7], v[50:51], v[50:51]                    // 00000000350C: D3B14006 18026532
	v_pk_fma_f32 v[4:5], v[4:5], s[78:79], v[8:9]              // 000000003514: D3B04004 1C209D04
	v_pk_fma_f32 v[6:7], v[6:7], s[78:79], v[8:9]              // 00000000351C: D3B04006 1C209D06
	v_pk_mul_f32 v[4:5], v[4:5], v[48:49]                      // 000000003524: D3B14004 18026104
	v_pk_mul_f32 v[6:7], v[6:7], v[50:51]                      // 00000000352C: D3B14006 18026506
	v_pk_mul_f32 v[4:5], v[4:5], s[60:61]                      // 000000003534: D3B14004 18007904
	v_pk_mul_f32 v[6:7], v[6:7], s[60:61]                      // 00000000353C: D3B14006 18007906
	v_exp_f32_e32 v4, v4                                       // 000000003544: 7E084104
	v_exp_f32_e32 v5, v5                                       // 000000003548: 7E0A4105
	v_exp_f32_e32 v6, v6                                       // 00000000354C: 7E0C4106
	v_exp_f32_e32 v7, v7                                       // 000000003550: 7E0E4107
	v_add_f32_e64 v4, v4, 1.0                                  // 000000003554: D1010004 0001E504
	v_add_f32_e64 v5, v5, 1.0                                  // 00000000355C: D1010005 0001E505
	v_add_f32_e64 v6, v6, 1.0                                  // 000000003564: D1010006 0001E506
	v_add_f32_e64 v7, v7, 1.0                                  // 00000000356C: D1010007 0001E507
	v_rcp_f32_e32 v4, v4                                       // 000000003574: 7E084504
	v_rcp_f32_e32 v5, v5                                       // 000000003578: 7E0A4505
	v_rcp_f32_e32 v6, v6                                       // 00000000357C: 7E0C4506
	v_rcp_f32_e32 v7, v7                                       // 000000003580: 7E0E4507
	v_mul_f32_e32 v48, v48, v4                                 // 000000003584: 0A600930
	v_mul_f32_e32 v49, v49, v5                                 // 000000003588: 0A620B31
	v_mul_f32_e32 v50, v50, v6                                 // 00000000358C: 0A640D32
	v_mul_f32_e32 v51, v51, v7                                 // 000000003590: 0A660F33
	v_mul_f32_e32 v48, v48, v56                                // 000000003594: 0A607130
	v_mul_f32_e32 v49, v49, v57                                // 000000003598: 0A627331
	v_mul_f32_e32 v50, v50, v58                                // 00000000359C: 0A647532
	v_mul_f32_e32 v51, v51, v59                                // 0000000035A0: 0A667733
	s_branch label_032A                                        // 0000000035A4: BF820040

00000000000035a8 <label_02EA>:
	v_mul_f32_e64 v4, -v44, s6                                 // 0000000035A8: D1050004 20000D2C
	v_mul_f32_e64 v5, -v45, s6                                 // 0000000035B0: D1050005 20000D2D
	v_mul_f32_e64 v6, -v46, s6                                 // 0000000035B8: D1050006 20000D2E
	v_mul_f32_e64 v7, -v47, s6                                 // 0000000035C0: D1050007 20000D2F
	v_exp_f32_e32 v4, v4                                       // 0000000035C8: 7E084104
	v_exp_f32_e32 v5, v5                                       // 0000000035CC: 7E0A4105
	v_exp_f32_e32 v6, v6                                       // 0000000035D0: 7E0C4106
	v_exp_f32_e32 v7, v7                                       // 0000000035D4: 7E0E4107
	v_add_f32_e64 v4, v4, 1.0                                  // 0000000035D8: D1010004 0001E504
	v_add_f32_e64 v5, v5, 1.0                                  // 0000000035E0: D1010005 0001E505
	v_add_f32_e64 v6, v6, 1.0                                  // 0000000035E8: D1010006 0001E506
	v_add_f32_e64 v7, v7, 1.0                                  // 0000000035F0: D1010007 0001E507
	v_rcp_f32_e32 v4, v4                                       // 0000000035F8: 7E084504
	v_rcp_f32_e32 v5, v5                                       // 0000000035FC: 7E0A4505
	v_rcp_f32_e32 v6, v6                                       // 000000003600: 7E0C4506
	v_rcp_f32_e32 v7, v7                                       // 000000003604: 7E0E4507
	v_mul_f32_e32 v44, v44, v4                                 // 000000003608: 0A58092C
	v_mul_f32_e32 v45, v45, v5                                 // 00000000360C: 0A5A0B2D
	v_mul_f32_e32 v46, v46, v6                                 // 000000003610: 0A5C0D2E
	v_mul_f32_e32 v47, v47, v7                                 // 000000003614: 0A5E0F2F
	v_mul_f32_e32 v44, v44, v52                                // 000000003618: 0A58692C
	v_mul_f32_e32 v45, v45, v53                                // 00000000361C: 0A5A6B2D
	v_mul_f32_e32 v46, v46, v54                                // 000000003620: 0A5C6D2E
	v_mul_f32_e32 v47, v47, v55                                // 000000003624: 0A5E6F2F
	v_mul_f32_e64 v4, -v48, s6                                 // 000000003628: D1050004 20000D30
	v_mul_f32_e64 v5, -v49, s6                                 // 000000003630: D1050005 20000D31
	v_mul_f32_e64 v6, -v50, s6                                 // 000000003638: D1050006 20000D32
	v_mul_f32_e64 v7, -v51, s6                                 // 000000003640: D1050007 20000D33
	v_exp_f32_e32 v4, v4                                       // 000000003648: 7E084104
	v_exp_f32_e32 v5, v5                                       // 00000000364C: 7E0A4105
	v_exp_f32_e32 v6, v6                                       // 000000003650: 7E0C4106
	v_exp_f32_e32 v7, v7                                       // 000000003654: 7E0E4107
	v_add_f32_e64 v4, v4, 1.0                                  // 000000003658: D1010004 0001E504
	v_add_f32_e64 v5, v5, 1.0                                  // 000000003660: D1010005 0001E505
	v_add_f32_e64 v6, v6, 1.0                                  // 000000003668: D1010006 0001E506
	v_add_f32_e64 v7, v7, 1.0                                  // 000000003670: D1010007 0001E507
	v_rcp_f32_e32 v4, v4                                       // 000000003678: 7E084504
	v_rcp_f32_e32 v5, v5                                       // 00000000367C: 7E0A4505
	v_rcp_f32_e32 v6, v6                                       // 000000003680: 7E0C4506
	v_rcp_f32_e32 v7, v7                                       // 000000003684: 7E0E4507
	v_mul_f32_e32 v48, v48, v4                                 // 000000003688: 0A600930
	v_mul_f32_e32 v49, v49, v5                                 // 00000000368C: 0A620B31
	v_mul_f32_e32 v50, v50, v6                                 // 000000003690: 0A640D32
	v_mul_f32_e32 v51, v51, v7                                 // 000000003694: 0A660F33
	v_mul_f32_e32 v48, v48, v56                                // 000000003698: 0A607130
	v_mul_f32_e32 v49, v49, v57                                // 00000000369C: 0A627331
	v_mul_f32_e32 v50, v50, v58                                // 0000000036A0: 0A647532
	v_mul_f32_e32 v51, v51, v59                                // 0000000036A4: 0A667733

00000000000036a8 <label_032A>:
	v_cmp_u_f32_e64 s[46:47], v44, v44                         // 0000000036A8: D048002E 0002592C
	v_add3_u32 v16, v44, v19, 1                                // 0000000036B0: D1FF0010 0206272C
	v_cndmask_b32_e64 v4, v16, v18, s[46:47]                   // 0000000036B8: D1000004 00BA2510
	v_cmp_u_f32_e64 s[46:47], v45, v45                         // 0000000036C0: D048002E 00025B2D
	v_add3_u32 v16, v45, v19, 1                                // 0000000036C8: D1FF0010 0206272D
	v_cndmask_b32_e64 v5, v16, v18, s[46:47]                   // 0000000036D0: D1000005 00BA2510
	v_perm_b32 v44, v5, v4, s52                                // 0000000036D8: D1ED002C 00D20905
	v_cmp_u_f32_e64 s[46:47], v46, v46                         // 0000000036E0: D048002E 00025D2E
	v_add3_u32 v16, v46, v19, 1                                // 0000000036E8: D1FF0010 0206272E
	v_cndmask_b32_e64 v4, v16, v18, s[46:47]                   // 0000000036F0: D1000004 00BA2510
	v_cmp_u_f32_e64 s[46:47], v47, v47                         // 0000000036F8: D048002E 00025F2F
	v_add3_u32 v16, v47, v19, 1                                // 000000003700: D1FF0010 0206272F
	v_cndmask_b32_e64 v5, v16, v18, s[46:47]                   // 000000003708: D1000005 00BA2510
	v_perm_b32 v45, v5, v4, s52                                // 000000003710: D1ED002D 00D20905
	v_cmp_u_f32_e64 s[46:47], v48, v48                         // 000000003718: D048002E 00026130
	v_add3_u32 v16, v48, v19, 1                                // 000000003720: D1FF0010 02062730
	v_cndmask_b32_e64 v4, v16, v18, s[46:47]                   // 000000003728: D1000004 00BA2510
	v_cmp_u_f32_e64 s[46:47], v49, v49                         // 000000003730: D048002E 00026331
	v_add3_u32 v16, v49, v19, 1                                // 000000003738: D1FF0010 02062731
	v_cndmask_b32_e64 v5, v16, v18, s[46:47]                   // 000000003740: D1000005 00BA2510
	v_perm_b32 v46, v5, v4, s52                                // 000000003748: D1ED002E 00D20905
	v_cmp_u_f32_e64 s[46:47], v50, v50                         // 000000003750: D048002E 00026532
	v_add3_u32 v16, v50, v19, 1                                // 000000003758: D1FF0010 02062732
	v_cndmask_b32_e64 v4, v16, v18, s[46:47]                   // 000000003760: D1000004 00BA2510
	v_cmp_u_f32_e64 s[46:47], v51, v51                         // 000000003768: D048002E 00026733
	v_add3_u32 v16, v51, v19, 1                                // 000000003770: D1FF0010 02062733
	v_cndmask_b32_e64 v5, v16, v18, s[46:47]                   // 000000003778: D1000005 00BA2510
	v_perm_b32 v47, v5, v4, s52                                // 000000003780: D1ED002F 00D20905
	ds_write_b64 v20, v[44:45]                                 // 000000003788: D89A0000 00002C14
	ds_write_b64 v20, v[46:47] offset:2176                     // 000000003790: D89A0880 00002E14
	v_lshrrev_b32_e32 v4, 5, v0                                // 000000003798: 20080085
	v_xor_b32_e32 v5, 1, v4                                    // 00000000379C: 2A0A0881
	s_mul_i32 s60, s65, 2                                      // 0000000037A0: 923C8241
	s_cmp_eq_u32 s88, 0                                        // 0000000037A4: BF068058
	s_cselect_b32 s61, 1, 4                                    // 0000000037A8: 853D8481
	s_mul_i32 s60, s61, s60                                    // 0000000037AC: 923C3C3D
	v_readlane_b32 s82, v3, 0                                  // 0000000037B0: D2890052 00010103
	s_lshr_b32 s61, s82, 24                                    // 0000000037B8: 8F3D9852
	s_and_b32 s82, s82, 0xffffff                               // 0000000037BC: 8652FF52 00FFFFFF
	s_mul_i32 s82, s82, s71                                    // 0000000037C4: 92524752
	s_mul_i32 s61, s60, s61                                    // 0000000037C8: 923D3D3C
	s_add_u32 s82, s82, s61                                    // 0000000037CC: 80523D52
	v_mul_lo_u32 v6, v5, s82                                   // 0000000037D0: D2850006 0000A505
	v_readlane_b32 s82, v3, 1                                  // 0000000037D8: D2890052 00010303
	s_lshr_b32 s61, s82, 24                                    // 0000000037E0: 8F3D9852
	s_and_b32 s82, s82, 0xffffff                               // 0000000037E4: 8652FF52 00FFFFFF
	s_mul_i32 s82, s82, s71                                    // 0000000037EC: 92524752
	s_mul_i32 s61, s60, s61                                    // 0000000037F0: 923D3D3C
	s_add_u32 s82, s82, s61                                    // 0000000037F4: 80523D52
	v_mul_lo_u32 v7, v4, s82                                   // 0000000037F8: D2850007 0000A504
	v_add_u32_e32 v36, v6, v7                                  // 000000003800: 68480F06
	v_readlane_b32 s82, v3, 2                                  // 000000003804: D2890052 00010503
	s_lshr_b32 s61, s82, 24                                    // 00000000380C: 8F3D9852
	s_and_b32 s82, s82, 0xffffff                               // 000000003810: 8652FF52 00FFFFFF
	s_mul_i32 s82, s82, s71                                    // 000000003818: 92524752
	s_mul_i32 s61, s60, s61                                    // 00000000381C: 923D3D3C
	s_add_u32 s82, s82, s61                                    // 000000003820: 80523D52
	v_mul_lo_u32 v6, v5, s82                                   // 000000003824: D2850006 0000A505
	v_readlane_b32 s82, v3, 3                                  // 00000000382C: D2890052 00010703
	s_lshr_b32 s61, s82, 24                                    // 000000003834: 8F3D9852
	s_and_b32 s82, s82, 0xffffff                               // 000000003838: 8652FF52 00FFFFFF
	s_mul_i32 s82, s82, s71                                    // 000000003840: 92524752
	s_mul_i32 s61, s60, s61                                    // 000000003844: 923D3D3C
	s_add_u32 s82, s82, s61                                    // 000000003848: 80523D52
	v_mul_lo_u32 v7, v4, s82                                   // 00000000384C: D2850007 0000A504
	v_add_u32_e32 v37, v6, v7                                  // 000000003854: 684A0F06
	v_readlane_b32 s82, v3, 4                                  // 000000003858: D2890052 00010903
	s_lshr_b32 s61, s82, 24                                    // 000000003860: 8F3D9852
	s_and_b32 s82, s82, 0xffffff                               // 000000003864: 8652FF52 00FFFFFF
	s_mul_i32 s82, s82, s71                                    // 00000000386C: 92524752
	s_mul_i32 s61, s60, s61                                    // 000000003870: 923D3D3C
	s_add_u32 s82, s82, s61                                    // 000000003874: 80523D52
	v_mul_lo_u32 v6, v5, s82                                   // 000000003878: D2850006 0000A505
	v_readlane_b32 s82, v3, 5                                  // 000000003880: D2890052 00010B03
	s_lshr_b32 s61, s82, 24                                    // 000000003888: 8F3D9852
	s_and_b32 s82, s82, 0xffffff                               // 00000000388C: 8652FF52 00FFFFFF
	s_mul_i32 s82, s82, s71                                    // 000000003894: 92524752
	s_mul_i32 s61, s60, s61                                    // 000000003898: 923D3D3C
	s_add_u32 s82, s82, s61                                    // 00000000389C: 80523D52
	v_mul_lo_u32 v7, v4, s82                                   // 0000000038A0: D2850007 0000A504
	v_add_u32_e32 v38, v6, v7                                  // 0000000038A8: 684C0F06
	v_readlane_b32 s82, v3, 6                                  // 0000000038AC: D2890052 00010D03
	s_lshr_b32 s61, s82, 24                                    // 0000000038B4: 8F3D9852
	s_and_b32 s82, s82, 0xffffff                               // 0000000038B8: 8652FF52 00FFFFFF
	s_mul_i32 s82, s82, s71                                    // 0000000038C0: 92524752
	s_mul_i32 s61, s60, s61                                    // 0000000038C4: 923D3D3C
	s_add_u32 s82, s82, s61                                    // 0000000038C8: 80523D52
	v_mul_lo_u32 v6, v5, s82                                   // 0000000038CC: D2850006 0000A505
	v_readlane_b32 s82, v3, 7                                  // 0000000038D4: D2890052 00010F03
	s_lshr_b32 s61, s82, 24                                    // 0000000038DC: 8F3D9852
	s_and_b32 s82, s82, 0xffffff                               // 0000000038E0: 8652FF52 00FFFFFF
	s_mul_i32 s82, s82, s71                                    // 0000000038E8: 92524752
	s_mul_i32 s61, s60, s61                                    // 0000000038EC: 923D3D3C
	s_add_u32 s82, s82, s61                                    // 0000000038F0: 80523D52
	v_mul_lo_u32 v7, v4, s82                                   // 0000000038F4: D2850007 0000A504
	v_add_u32_e32 v39, v6, v7                                  // 0000000038FC: 684E0F06
	v_and_b32_e32 v4, 31, v0                                   // 000000003900: 2608009F
	v_lshrrev_b32_e32 v4, 1, v4                                // 000000003904: 20080881
	s_cmp_eq_u32 s88, 0                                        // 000000003908: BF068058
	s_cselect_b32 s61, 2, 4                                    // 00000000390C: 853D8482
	v_mul_lo_u32 v4, v4, s61                                   // 000000003910: D2850004 00007B04
	v_and_b32_e64 v5, v0, 1                                    // 000000003918: D1130005 00010300
	v_add_u32_e32 v4, v4, v5                                   // 000000003920: 68080B04
	v_lshlrev_b32_e32 v4, 2, v4                                // 000000003924: 24080882
	v_add_u32_e32 v36, v36, v4                                 // 000000003928: 68480924
	v_add_u32_e32 v37, v37, v4                                 // 00000000392C: 684A0925
	v_add_u32_e32 v38, v38, v4                                 // 000000003930: 684C0926
	v_add_u32_e32 v39, v39, v4                                 // 000000003934: 684E0927
	s_waitcnt lgkmcnt(0)                                       // 000000003938: BF8CC07F
	s_barrier                                                  // 00000000393C: BF8A0000
	ds_read_b32 v44, v21                                       // 000000003940: D86C0000 2C000015
	ds_read_b32 v45, v21 offset:64                             // 000000003948: D86C0040 2D000015
	ds_read_b32 v46, v21 offset:2176                           // 000000003950: D86C0880 2E000015
	ds_read_b32 v47, v21 offset:2240                           // 000000003958: D86C08C0 2F000015
	s_waitcnt lgkmcnt(0)                                       // 000000003960: BF8CC07F
	s_mov_b32 s36, -1                                          // 000000003964: BEA400C1
	s_mov_b32 s37, -1                                          // 000000003968: BEA500C1
	v_mov_b32_e32 v7, 0                                        // 00000000396C: 7E0E0280
	s_or_b32 s9, s9, 0x40000                                   // 000000003970: 8709FF09 00040000
	s_mov_b64 exec, s[36:37]                                   // 000000003978: BEFE0124
	v_mov_b32_e32 v6, v36                                      // 00000000397C: 7E0C0324
	s_mov_b64 s[60:61], 0                                      // 000000003980: BEBC0180
	v_readlane_b32 s82, v3, 0                                  // 000000003984: D2890052 00010103
	s_and_b32 s82, s82, 0xffffff                               // 00000000398C: 8652FF52 00FFFFFF
	s_cmp_lt_u32 s82, s66                                      // 000000003994: BF0A4252
	s_cselect_b32 s20, s36, s60                                // 000000003998: 85143C24
	v_readlane_b32 s82, v3, 1                                  // 00000000399C: D2890052 00010303
	s_and_b32 s82, s82, 0xffffff                               // 0000000039A4: 8652FF52 00FFFFFF
	s_cmp_lt_u32 s82, s66                                      // 0000000039AC: BF0A4252
	s_cselect_b32 s21, s36, s60                                // 0000000039B0: 85153C24
	s_mov_b64 exec, s[20:21]                                   // 0000000039B4: BEFE0114
	buffer_store_dword v44, v6, s[8:11], 0 offen               // 0000000039B8: E0701000 80022C06
	s_mov_b64 exec, s[36:37]                                   // 0000000039C0: BEFE0124
	v_mov_b32_e32 v6, v37                                      // 0000000039C4: 7E0C0325
	s_mov_b64 s[60:61], 0                                      // 0000000039C8: BEBC0180
	v_readlane_b32 s82, v3, 2                                  // 0000000039CC: D2890052 00010503
	s_and_b32 s82, s82, 0xffffff                               // 0000000039D4: 8652FF52 00FFFFFF
	s_cmp_lt_u32 s82, s66                                      // 0000000039DC: BF0A4252
	s_cselect_b32 s20, s36, s60                                // 0000000039E0: 85143C24
	v_readlane_b32 s82, v3, 3                                  // 0000000039E4: D2890052 00010703
	s_and_b32 s82, s82, 0xffffff                               // 0000000039EC: 8652FF52 00FFFFFF
	s_cmp_lt_u32 s82, s66                                      // 0000000039F4: BF0A4252
	s_cselect_b32 s21, s36, s60                                // 0000000039F8: 85153C24
	s_mov_b64 exec, s[20:21]                                   // 0000000039FC: BEFE0114
	buffer_store_dword v45, v6, s[8:11], 0 offen               // 000000003A00: E0701000 80022D06
	s_mov_b64 exec, s[36:37]                                   // 000000003A08: BEFE0124
	v_mov_b32_e32 v6, v38                                      // 000000003A0C: 7E0C0326
	s_mov_b64 s[60:61], 0                                      // 000000003A10: BEBC0180
	v_readlane_b32 s82, v3, 4                                  // 000000003A14: D2890052 00010903
	s_and_b32 s82, s82, 0xffffff                               // 000000003A1C: 8652FF52 00FFFFFF
	s_cmp_lt_u32 s82, s66                                      // 000000003A24: BF0A4252
	s_cselect_b32 s20, s36, s60                                // 000000003A28: 85143C24
	v_readlane_b32 s82, v3, 5                                  // 000000003A2C: D2890052 00010B03
	s_and_b32 s82, s82, 0xffffff                               // 000000003A34: 8652FF52 00FFFFFF
	s_cmp_lt_u32 s82, s66                                      // 000000003A3C: BF0A4252
	s_cselect_b32 s21, s36, s60                                // 000000003A40: 85153C24
	s_mov_b64 exec, s[20:21]                                   // 000000003A44: BEFE0114
	buffer_store_dword v46, v6, s[8:11], 0 offen               // 000000003A48: E0701000 80022E06
	s_mov_b64 exec, s[36:37]                                   // 000000003A50: BEFE0124
	v_mov_b32_e32 v6, v39                                      // 000000003A54: 7E0C0327
	s_mov_b64 s[60:61], 0                                      // 000000003A58: BEBC0180
	v_readlane_b32 s82, v3, 6                                  // 000000003A5C: D2890052 00010D03
	s_and_b32 s82, s82, 0xffffff                               // 000000003A64: 8652FF52 00FFFFFF
	s_cmp_lt_u32 s82, s66                                      // 000000003A6C: BF0A4252
	s_cselect_b32 s20, s36, s60                                // 000000003A70: 85143C24
	v_readlane_b32 s82, v3, 7                                  // 000000003A74: D2890052 00010F03
	s_and_b32 s82, s82, 0xffffff                               // 000000003A7C: 8652FF52 00FFFFFF
	s_cmp_lt_u32 s82, s66                                      // 000000003A84: BF0A4252
	s_cselect_b32 s21, s36, s60                                // 000000003A88: 85153C24
	s_mov_b64 exec, s[20:21]                                   // 000000003A8C: BEFE0114
	buffer_store_dword v47, v6, s[8:11], 0 offen               // 000000003A90: E0701000 80022F06
	s_mov_b64 exec, s[36:37]                                   // 000000003A98: BEFE0124
	s_branch label_0A49                                        // 000000003A9C: BF82061E

0000000000003aa0 <label_0428>:
	ds_write_b64 v20, v[44:45]                                 // 000000003AA0: D89A0000 00002C14
	ds_write_b64 v20, v[48:49] offset:2176                     // 000000003AA8: D89A0880 00003014
	v_lshrrev_b32_e32 v4, 5, v0                                // 000000003AB0: 20080085
	v_xor_b32_e32 v5, 1, v4                                    // 000000003AB4: 2A0A0881
	s_mul_i32 s60, s65, 2                                      // 000000003AB8: 923C8241
	s_cmp_eq_u32 s88, 0                                        // 000000003ABC: BF068058
	s_cselect_b32 s61, 1, 4                                    // 000000003AC0: 853D8481
	s_mul_i32 s60, s61, s60                                    // 000000003AC4: 923C3C3D
	v_readlane_b32 s82, v3, 0                                  // 000000003AC8: D2890052 00010103
	s_lshr_b32 s61, s82, 24                                    // 000000003AD0: 8F3D9852
	s_and_b32 s82, s82, 0xffffff                               // 000000003AD4: 8652FF52 00FFFFFF
	s_mul_i32 s82, s82, s71                                    // 000000003ADC: 92524752
	s_mul_i32 s61, s60, s61                                    // 000000003AE0: 923D3D3C
	s_add_u32 s82, s82, s61                                    // 000000003AE4: 80523D52
	v_mul_lo_u32 v6, v5, s82                                   // 000000003AE8: D2850006 0000A505
	v_readlane_b32 s82, v3, 1                                  // 000000003AF0: D2890052 00010303
	s_lshr_b32 s61, s82, 24                                    // 000000003AF8: 8F3D9852
	s_and_b32 s82, s82, 0xffffff                               // 000000003AFC: 8652FF52 00FFFFFF
	s_mul_i32 s82, s82, s71                                    // 000000003B04: 92524752
	s_mul_i32 s61, s60, s61                                    // 000000003B08: 923D3D3C
	s_add_u32 s82, s82, s61                                    // 000000003B0C: 80523D52
	v_mul_lo_u32 v7, v4, s82                                   // 000000003B10: D2850007 0000A504
	v_add_u32_e32 v36, v6, v7                                  // 000000003B18: 68480F06
	v_readlane_b32 s82, v3, 2                                  // 000000003B1C: D2890052 00010503
	s_lshr_b32 s61, s82, 24                                    // 000000003B24: 8F3D9852
	s_and_b32 s82, s82, 0xffffff                               // 000000003B28: 8652FF52 00FFFFFF
	s_mul_i32 s82, s82, s71                                    // 000000003B30: 92524752
	s_mul_i32 s61, s60, s61                                    // 000000003B34: 923D3D3C
	s_add_u32 s82, s82, s61                                    // 000000003B38: 80523D52
	v_mul_lo_u32 v6, v5, s82                                   // 000000003B3C: D2850006 0000A505
	v_readlane_b32 s82, v3, 3                                  // 000000003B44: D2890052 00010703
	s_lshr_b32 s61, s82, 24                                    // 000000003B4C: 8F3D9852
	s_and_b32 s82, s82, 0xffffff                               // 000000003B50: 8652FF52 00FFFFFF
	s_mul_i32 s82, s82, s71                                    // 000000003B58: 92524752
	s_mul_i32 s61, s60, s61                                    // 000000003B5C: 923D3D3C
	s_add_u32 s82, s82, s61                                    // 000000003B60: 80523D52
	v_mul_lo_u32 v7, v4, s82                                   // 000000003B64: D2850007 0000A504
	v_add_u32_e32 v37, v6, v7                                  // 000000003B6C: 684A0F06
	v_readlane_b32 s82, v3, 4                                  // 000000003B70: D2890052 00010903
	s_lshr_b32 s61, s82, 24                                    // 000000003B78: 8F3D9852
	s_and_b32 s82, s82, 0xffffff                               // 000000003B7C: 8652FF52 00FFFFFF
	s_mul_i32 s82, s82, s71                                    // 000000003B84: 92524752
	s_mul_i32 s61, s60, s61                                    // 000000003B88: 923D3D3C
	s_add_u32 s82, s82, s61                                    // 000000003B8C: 80523D52
	v_mul_lo_u32 v6, v5, s82                                   // 000000003B90: D2850006 0000A505
	v_readlane_b32 s82, v3, 5                                  // 000000003B98: D2890052 00010B03
	s_lshr_b32 s61, s82, 24                                    // 000000003BA0: 8F3D9852
	s_and_b32 s82, s82, 0xffffff                               // 000000003BA4: 8652FF52 00FFFFFF
	s_mul_i32 s82, s82, s71                                    // 000000003BAC: 92524752
	s_mul_i32 s61, s60, s61                                    // 000000003BB0: 923D3D3C
	s_add_u32 s82, s82, s61                                    // 000000003BB4: 80523D52
	v_mul_lo_u32 v7, v4, s82                                   // 000000003BB8: D2850007 0000A504
	v_add_u32_e32 v38, v6, v7                                  // 000000003BC0: 684C0F06
	v_readlane_b32 s82, v3, 6                                  // 000000003BC4: D2890052 00010D03
	s_lshr_b32 s61, s82, 24                                    // 000000003BCC: 8F3D9852
	s_and_b32 s82, s82, 0xffffff                               // 000000003BD0: 8652FF52 00FFFFFF
	s_mul_i32 s82, s82, s71                                    // 000000003BD8: 92524752
	s_mul_i32 s61, s60, s61                                    // 000000003BDC: 923D3D3C
	s_add_u32 s82, s82, s61                                    // 000000003BE0: 80523D52
	v_mul_lo_u32 v6, v5, s82                                   // 000000003BE4: D2850006 0000A505
	v_readlane_b32 s82, v3, 7                                  // 000000003BEC: D2890052 00010F03
	s_lshr_b32 s61, s82, 24                                    // 000000003BF4: 8F3D9852
	s_and_b32 s82, s82, 0xffffff                               // 000000003BF8: 8652FF52 00FFFFFF
	s_mul_i32 s82, s82, s71                                    // 000000003C00: 92524752
	s_mul_i32 s61, s60, s61                                    // 000000003C04: 923D3D3C
	s_add_u32 s82, s82, s61                                    // 000000003C08: 80523D52
	v_mul_lo_u32 v7, v4, s82                                   // 000000003C0C: D2850007 0000A504
	v_add_u32_e32 v39, v6, v7                                  // 000000003C14: 684E0F06
	v_and_b32_e32 v4, 31, v0                                   // 000000003C18: 2608009F
	v_lshrrev_b32_e32 v4, 1, v4                                // 000000003C1C: 20080881
	s_cmp_eq_u32 s88, 0                                        // 000000003C20: BF068058
	s_cselect_b32 s61, 2, 4                                    // 000000003C24: 853D8482
	v_mul_lo_u32 v4, v4, s61                                   // 000000003C28: D2850004 00007B04
	v_and_b32_e64 v5, v0, 1                                    // 000000003C30: D1130005 00010300
	v_add_u32_e32 v4, v4, v5                                   // 000000003C38: 68080B04
	v_lshlrev_b32_e32 v4, 2, v4                                // 000000003C3C: 24080882
	v_add_u32_e32 v36, v36, v4                                 // 000000003C40: 68480924
	v_add_u32_e32 v37, v37, v4                                 // 000000003C44: 684A0925
	v_add_u32_e32 v38, v38, v4                                 // 000000003C48: 684C0926
	v_add_u32_e32 v39, v39, v4                                 // 000000003C4C: 684E0927
	s_waitcnt lgkmcnt(0)                                       // 000000003C50: BF8CC07F
	s_barrier                                                  // 000000003C54: BF8A0000
	ds_read_b32 v44, v21                                       // 000000003C58: D86C0000 2C000015
	ds_read_b32 v45, v21 offset:64                             // 000000003C60: D86C0040 2D000015
	ds_read_b32 v48, v21 offset:2176                           // 000000003C68: D86C0880 30000015
	ds_read_b32 v49, v21 offset:2240                           // 000000003C70: D86C08C0 31000015
	s_waitcnt lgkmcnt(0)                                       // 000000003C78: BF8CC07F
	s_mov_b32 s36, -1                                          // 000000003C7C: BEA400C1
	s_mov_b32 s37, -1                                          // 000000003C80: BEA500C1
	v_mov_b32_e32 v7, 0                                        // 000000003C84: 7E0E0280
	s_mov_b64 exec, s[36:37]                                   // 000000003C88: BEFE0124
	v_mov_b32_e32 v6, v36                                      // 000000003C8C: 7E0C0324
	s_mov_b64 s[60:61], 0                                      // 000000003C90: BEBC0180
	v_readlane_b32 s82, v3, 0                                  // 000000003C94: D2890052 00010103
	s_and_b32 s82, s82, 0xffffff                               // 000000003C9C: 8652FF52 00FFFFFF
	s_cmp_lt_u32 s82, s66                                      // 000000003CA4: BF0A4252
	s_cselect_b32 s20, s36, s60                                // 000000003CA8: 85143C24
	v_readlane_b32 s82, v3, 1                                  // 000000003CAC: D2890052 00010303
	s_and_b32 s82, s82, 0xffffff                               // 000000003CB4: 8652FF52 00FFFFFF
	s_cmp_lt_u32 s82, s66                                      // 000000003CBC: BF0A4252
	s_cselect_b32 s21, s36, s60                                // 000000003CC0: 85153C24
	s_mov_b64 exec, s[20:21]                                   // 000000003CC4: BEFE0114
	global_atomic_add_f32 v6, v44, s[8:9]                      // 000000003CC8: DD348000 00082C06
	s_mov_b64 exec, s[36:37]                                   // 000000003CD0: BEFE0124
	v_mov_b32_e32 v6, v37                                      // 000000003CD4: 7E0C0325
	s_mov_b64 s[60:61], 0                                      // 000000003CD8: BEBC0180
	v_readlane_b32 s82, v3, 2                                  // 000000003CDC: D2890052 00010503
	s_and_b32 s82, s82, 0xffffff                               // 000000003CE4: 8652FF52 00FFFFFF
	s_cmp_lt_u32 s82, s66                                      // 000000003CEC: BF0A4252
	s_cselect_b32 s20, s36, s60                                // 000000003CF0: 85143C24
	v_readlane_b32 s82, v3, 3                                  // 000000003CF4: D2890052 00010703
	s_and_b32 s82, s82, 0xffffff                               // 000000003CFC: 8652FF52 00FFFFFF
	s_cmp_lt_u32 s82, s66                                      // 000000003D04: BF0A4252
	s_cselect_b32 s21, s36, s60                                // 000000003D08: 85153C24
	s_mov_b64 exec, s[20:21]                                   // 000000003D0C: BEFE0114
	global_atomic_add_f32 v6, v45, s[8:9]                      // 000000003D10: DD348000 00082D06
	s_mov_b64 exec, s[36:37]                                   // 000000003D18: BEFE0124
	v_mov_b32_e32 v6, v38                                      // 000000003D1C: 7E0C0326
	s_mov_b64 s[60:61], 0                                      // 000000003D20: BEBC0180
	v_readlane_b32 s82, v3, 4                                  // 000000003D24: D2890052 00010903
	s_and_b32 s82, s82, 0xffffff                               // 000000003D2C: 8652FF52 00FFFFFF
	s_cmp_lt_u32 s82, s66                                      // 000000003D34: BF0A4252
	s_cselect_b32 s20, s36, s60                                // 000000003D38: 85143C24
	v_readlane_b32 s82, v3, 5                                  // 000000003D3C: D2890052 00010B03
	s_and_b32 s82, s82, 0xffffff                               // 000000003D44: 8652FF52 00FFFFFF
	s_cmp_lt_u32 s82, s66                                      // 000000003D4C: BF0A4252
	s_cselect_b32 s21, s36, s60                                // 000000003D50: 85153C24
	s_mov_b64 exec, s[20:21]                                   // 000000003D54: BEFE0114
	global_atomic_add_f32 v6, v48, s[8:9]                      // 000000003D58: DD348000 00083006
	s_mov_b64 exec, s[36:37]                                   // 000000003D60: BEFE0124
	v_mov_b32_e32 v6, v39                                      // 000000003D64: 7E0C0327
	s_mov_b64 s[60:61], 0                                      // 000000003D68: BEBC0180
	v_readlane_b32 s82, v3, 6                                  // 000000003D6C: D2890052 00010D03
	s_and_b32 s82, s82, 0xffffff                               // 000000003D74: 8652FF52 00FFFFFF
	s_cmp_lt_u32 s82, s66                                      // 000000003D7C: BF0A4252
	s_cselect_b32 s20, s36, s60                                // 000000003D80: 85143C24
	v_readlane_b32 s82, v3, 7                                  // 000000003D84: D2890052 00010F03
	s_and_b32 s82, s82, 0xffffff                               // 000000003D8C: 8652FF52 00FFFFFF
	s_cmp_lt_u32 s82, s66                                      // 000000003D94: BF0A4252
	s_cselect_b32 s21, s36, s60                                // 000000003D98: 85153C24
	s_mov_b64 exec, s[20:21]                                   // 000000003D9C: BEFE0114
	global_atomic_add_f32 v6, v49, s[8:9]                      // 000000003DA0: DD348000 00083106
	s_mov_b64 exec, s[36:37]                                   // 000000003DA8: BEFE0124
	ds_write_b64 v20, v[46:47]                                 // 000000003DAC: D89A0000 00002E14
	ds_write_b64 v20, v[50:51] offset:2176                     // 000000003DB4: D89A0880 00003214
	s_waitcnt lgkmcnt(0)                                       // 000000003DBC: BF8CC07F
	s_barrier                                                  // 000000003DC0: BF8A0000
	ds_read_b32 v46, v21                                       // 000000003DC4: D86C0000 2E000015
	ds_read_b32 v47, v21 offset:64                             // 000000003DCC: D86C0040 2F000015
	ds_read_b32 v50, v21 offset:2176                           // 000000003DD4: D86C0880 32000015
	ds_read_b32 v51, v21 offset:2240                           // 000000003DDC: D86C08C0 33000015
	s_waitcnt lgkmcnt(0)                                       // 000000003DE4: BF8CC07F
	v_mov_b32_e32 v7, 0                                        // 000000003DE8: 7E0E0280
	s_mov_b64 exec, s[36:37]                                   // 000000003DEC: BEFE0124
	v_mov_b32_e32 v6, v36                                      // 000000003DF0: 7E0C0324
	s_mov_b64 s[60:61], 0                                      // 000000003DF4: BEBC0180
	v_readlane_b32 s82, v3, 0                                  // 000000003DF8: D2890052 00010103
	s_and_b32 s82, s82, 0xffffff                               // 000000003E00: 8652FF52 00FFFFFF
	s_cmp_lt_u32 s82, s66                                      // 000000003E08: BF0A4252
	s_cselect_b32 s20, s36, s60                                // 000000003E0C: 85143C24
	v_readlane_b32 s82, v3, 1                                  // 000000003E10: D2890052 00010303
	s_and_b32 s82, s82, 0xffffff                               // 000000003E18: 8652FF52 00FFFFFF
	s_cmp_lt_u32 s82, s66                                      // 000000003E20: BF0A4252
	s_cselect_b32 s21, s36, s60                                // 000000003E24: 85153C24
	s_mov_b64 exec, s[20:21]                                   // 000000003E28: BEFE0114
	global_atomic_add_f32 v6, v46, s[8:9] offset:8             // 000000003E2C: DD348008 00082E06
	s_mov_b64 exec, s[36:37]                                   // 000000003E34: BEFE0124
	v_mov_b32_e32 v6, v37                                      // 000000003E38: 7E0C0325
	s_mov_b64 s[60:61], 0                                      // 000000003E3C: BEBC0180
	v_readlane_b32 s82, v3, 2                                  // 000000003E40: D2890052 00010503
	s_and_b32 s82, s82, 0xffffff                               // 000000003E48: 8652FF52 00FFFFFF
	s_cmp_lt_u32 s82, s66                                      // 000000003E50: BF0A4252
	s_cselect_b32 s20, s36, s60                                // 000000003E54: 85143C24
	v_readlane_b32 s82, v3, 3                                  // 000000003E58: D2890052 00010703
	s_and_b32 s82, s82, 0xffffff                               // 000000003E60: 8652FF52 00FFFFFF
	s_cmp_lt_u32 s82, s66                                      // 000000003E68: BF0A4252
	s_cselect_b32 s21, s36, s60                                // 000000003E6C: 85153C24
	s_mov_b64 exec, s[20:21]                                   // 000000003E70: BEFE0114
	global_atomic_add_f32 v6, v47, s[8:9] offset:8             // 000000003E74: DD348008 00082F06
	s_mov_b64 exec, s[36:37]                                   // 000000003E7C: BEFE0124
	v_mov_b32_e32 v6, v38                                      // 000000003E80: 7E0C0326
	s_mov_b64 s[60:61], 0                                      // 000000003E84: BEBC0180
	v_readlane_b32 s82, v3, 4                                  // 000000003E88: D2890052 00010903
	s_and_b32 s82, s82, 0xffffff                               // 000000003E90: 8652FF52 00FFFFFF
	s_cmp_lt_u32 s82, s66                                      // 000000003E98: BF0A4252
	s_cselect_b32 s20, s36, s60                                // 000000003E9C: 85143C24
	v_readlane_b32 s82, v3, 5                                  // 000000003EA0: D2890052 00010B03
	s_and_b32 s82, s82, 0xffffff                               // 000000003EA8: 8652FF52 00FFFFFF
	s_cmp_lt_u32 s82, s66                                      // 000000003EB0: BF0A4252
	s_cselect_b32 s21, s36, s60                                // 000000003EB4: 85153C24
	s_mov_b64 exec, s[20:21]                                   // 000000003EB8: BEFE0114
	global_atomic_add_f32 v6, v50, s[8:9] offset:8             // 000000003EBC: DD348008 00083206
	s_mov_b64 exec, s[36:37]                                   // 000000003EC4: BEFE0124
	v_mov_b32_e32 v6, v39                                      // 000000003EC8: 7E0C0327
	s_mov_b64 s[60:61], 0                                      // 000000003ECC: BEBC0180
	v_readlane_b32 s82, v3, 6                                  // 000000003ED0: D2890052 00010D03
	s_and_b32 s82, s82, 0xffffff                               // 000000003ED8: 8652FF52 00FFFFFF
	s_cmp_lt_u32 s82, s66                                      // 000000003EE0: BF0A4252
	s_cselect_b32 s20, s36, s60                                // 000000003EE4: 85143C24
	v_readlane_b32 s82, v3, 7                                  // 000000003EE8: D2890052 00010F03
	s_and_b32 s82, s82, 0xffffff                               // 000000003EF0: 8652FF52 00FFFFFF
	s_cmp_lt_u32 s82, s66                                      // 000000003EF8: BF0A4252
	s_cselect_b32 s21, s36, s60                                // 000000003EFC: 85153C24
	s_mov_b64 exec, s[20:21]                                   // 000000003F00: BEFE0114
	global_atomic_add_f32 v6, v51, s[8:9] offset:8             // 000000003F04: DD348008 00083306
	s_mov_b64 exec, s[36:37]                                   // 000000003F0C: BEFE0124
	ds_write_b64 v20, v[52:53]                                 // 000000003F10: D89A0000 00003414
	ds_write_b64 v20, v[56:57] offset:2176                     // 000000003F18: D89A0880 00003814
	s_waitcnt lgkmcnt(0)                                       // 000000003F20: BF8CC07F
	s_barrier                                                  // 000000003F24: BF8A0000
	ds_read_b32 v52, v21                                       // 000000003F28: D86C0000 34000015
	ds_read_b32 v53, v21 offset:64                             // 000000003F30: D86C0040 35000015
	ds_read_b32 v56, v21 offset:2176                           // 000000003F38: D86C0880 38000015
	ds_read_b32 v57, v21 offset:2240                           // 000000003F40: D86C08C0 39000015
	s_mul_i32 s60, s65, 4                                      // 000000003F48: 923C8441
	s_add_u32 s8, s60, s8                                      // 000000003F4C: 8008083C
	s_addc_u32 s9, 0, s9                                       // 000000003F50: 82090980
	s_waitcnt lgkmcnt(0)                                       // 000000003F54: BF8CC07F
	v_mov_b32_e32 v7, 0                                        // 000000003F58: 7E0E0280
	s_mov_b64 exec, s[36:37]                                   // 000000003F5C: BEFE0124
	v_mov_b32_e32 v6, v36                                      // 000000003F60: 7E0C0324
	s_mov_b64 s[60:61], 0                                      // 000000003F64: BEBC0180
	v_readlane_b32 s82, v3, 0                                  // 000000003F68: D2890052 00010103
	s_and_b32 s82, s82, 0xffffff                               // 000000003F70: 8652FF52 00FFFFFF
	s_cmp_lt_u32 s82, s66                                      // 000000003F78: BF0A4252
	s_cselect_b32 s20, s36, s60                                // 000000003F7C: 85143C24
	v_readlane_b32 s82, v3, 1                                  // 000000003F80: D2890052 00010303
	s_and_b32 s82, s82, 0xffffff                               // 000000003F88: 8652FF52 00FFFFFF
	s_cmp_lt_u32 s82, s66                                      // 000000003F90: BF0A4252
	s_cselect_b32 s21, s36, s60                                // 000000003F94: 85153C24
	s_mov_b64 exec, s[20:21]                                   // 000000003F98: BEFE0114
	global_atomic_add_f32 v6, v52, s[8:9]                      // 000000003F9C: DD348000 00083406
	s_mov_b64 exec, s[36:37]                                   // 000000003FA4: BEFE0124
	v_mov_b32_e32 v6, v37                                      // 000000003FA8: 7E0C0325
	s_mov_b64 s[60:61], 0                                      // 000000003FAC: BEBC0180
	v_readlane_b32 s82, v3, 2                                  // 000000003FB0: D2890052 00010503
	s_and_b32 s82, s82, 0xffffff                               // 000000003FB8: 8652FF52 00FFFFFF
	s_cmp_lt_u32 s82, s66                                      // 000000003FC0: BF0A4252
	s_cselect_b32 s20, s36, s60                                // 000000003FC4: 85143C24
	v_readlane_b32 s82, v3, 3                                  // 000000003FC8: D2890052 00010703
	s_and_b32 s82, s82, 0xffffff                               // 000000003FD0: 8652FF52 00FFFFFF
	s_cmp_lt_u32 s82, s66                                      // 000000003FD8: BF0A4252
	s_cselect_b32 s21, s36, s60                                // 000000003FDC: 85153C24
	s_mov_b64 exec, s[20:21]                                   // 000000003FE0: BEFE0114
	global_atomic_add_f32 v6, v53, s[8:9]                      // 000000003FE4: DD348000 00083506
	s_mov_b64 exec, s[36:37]                                   // 000000003FEC: BEFE0124
	v_mov_b32_e32 v6, v38                                      // 000000003FF0: 7E0C0326
	s_mov_b64 s[60:61], 0                                      // 000000003FF4: BEBC0180
	v_readlane_b32 s82, v3, 4                                  // 000000003FF8: D2890052 00010903
	s_and_b32 s82, s82, 0xffffff                               // 000000004000: 8652FF52 00FFFFFF
	s_cmp_lt_u32 s82, s66                                      // 000000004008: BF0A4252
	s_cselect_b32 s20, s36, s60                                // 00000000400C: 85143C24
	v_readlane_b32 s82, v3, 5                                  // 000000004010: D2890052 00010B03
	s_and_b32 s82, s82, 0xffffff                               // 000000004018: 8652FF52 00FFFFFF
	s_cmp_lt_u32 s82, s66                                      // 000000004020: BF0A4252
	s_cselect_b32 s21, s36, s60                                // 000000004024: 85153C24
	s_mov_b64 exec, s[20:21]                                   // 000000004028: BEFE0114
	global_atomic_add_f32 v6, v56, s[8:9]                      // 00000000402C: DD348000 00083806
	s_mov_b64 exec, s[36:37]                                   // 000000004034: BEFE0124
	v_mov_b32_e32 v6, v39                                      // 000000004038: 7E0C0327
	s_mov_b64 s[60:61], 0                                      // 00000000403C: BEBC0180
	v_readlane_b32 s82, v3, 6                                  // 000000004040: D2890052 00010D03
	s_and_b32 s82, s82, 0xffffff                               // 000000004048: 8652FF52 00FFFFFF
	s_cmp_lt_u32 s82, s66                                      // 000000004050: BF0A4252
	s_cselect_b32 s20, s36, s60                                // 000000004054: 85143C24
	v_readlane_b32 s82, v3, 7                                  // 000000004058: D2890052 00010F03
	s_and_b32 s82, s82, 0xffffff                               // 000000004060: 8652FF52 00FFFFFF
	s_cmp_lt_u32 s82, s66                                      // 000000004068: BF0A4252
	s_cselect_b32 s21, s36, s60                                // 00000000406C: 85153C24
	s_mov_b64 exec, s[20:21]                                   // 000000004070: BEFE0114
	global_atomic_add_f32 v6, v57, s[8:9]                      // 000000004074: DD348000 00083906
	s_mov_b64 exec, s[36:37]                                   // 00000000407C: BEFE0124
	ds_write_b64 v20, v[54:55]                                 // 000000004080: D89A0000 00003614
	ds_write_b64 v20, v[58:59] offset:2176                     // 000000004088: D89A0880 00003A14
	s_waitcnt lgkmcnt(0)                                       // 000000004090: BF8CC07F
	s_barrier                                                  // 000000004094: BF8A0000
	ds_read_b32 v54, v21                                       // 000000004098: D86C0000 36000015
	ds_read_b32 v55, v21 offset:64                             // 0000000040A0: D86C0040 37000015
	ds_read_b32 v58, v21 offset:2176                           // 0000000040A8: D86C0880 3A000015
	ds_read_b32 v59, v21 offset:2240                           // 0000000040B0: D86C08C0 3B000015
	s_waitcnt lgkmcnt(0)                                       // 0000000040B8: BF8CC07F
	v_mov_b32_e32 v7, 0                                        // 0000000040BC: 7E0E0280
	s_mov_b64 exec, s[36:37]                                   // 0000000040C0: BEFE0124
	v_mov_b32_e32 v6, v36                                      // 0000000040C4: 7E0C0324
	s_mov_b64 s[60:61], 0                                      // 0000000040C8: BEBC0180
	v_readlane_b32 s82, v3, 0                                  // 0000000040CC: D2890052 00010103
	s_and_b32 s82, s82, 0xffffff                               // 0000000040D4: 8652FF52 00FFFFFF
	s_cmp_lt_u32 s82, s66                                      // 0000000040DC: BF0A4252
	s_cselect_b32 s20, s36, s60                                // 0000000040E0: 85143C24
	v_readlane_b32 s82, v3, 1                                  // 0000000040E4: D2890052 00010303
	s_and_b32 s82, s82, 0xffffff                               // 0000000040EC: 8652FF52 00FFFFFF
	s_cmp_lt_u32 s82, s66                                      // 0000000040F4: BF0A4252
	s_cselect_b32 s21, s36, s60                                // 0000000040F8: 85153C24
	s_mov_b64 exec, s[20:21]                                   // 0000000040FC: BEFE0114
	global_atomic_add_f32 v6, v54, s[8:9] offset:8             // 000000004100: DD348008 00083606
	s_mov_b64 exec, s[36:37]                                   // 000000004108: BEFE0124
	v_mov_b32_e32 v6, v37                                      // 00000000410C: 7E0C0325
	s_mov_b64 s[60:61], 0                                      // 000000004110: BEBC0180
	v_readlane_b32 s82, v3, 2                                  // 000000004114: D2890052 00010503
	s_and_b32 s82, s82, 0xffffff                               // 00000000411C: 8652FF52 00FFFFFF
	s_cmp_lt_u32 s82, s66                                      // 000000004124: BF0A4252
	s_cselect_b32 s20, s36, s60                                // 000000004128: 85143C24
	v_readlane_b32 s82, v3, 3                                  // 00000000412C: D2890052 00010703
	s_and_b32 s82, s82, 0xffffff                               // 000000004134: 8652FF52 00FFFFFF
	s_cmp_lt_u32 s82, s66                                      // 00000000413C: BF0A4252
	s_cselect_b32 s21, s36, s60                                // 000000004140: 85153C24
	s_mov_b64 exec, s[20:21]                                   // 000000004144: BEFE0114
	global_atomic_add_f32 v6, v55, s[8:9] offset:8             // 000000004148: DD348008 00083706
	s_mov_b64 exec, s[36:37]                                   // 000000004150: BEFE0124
	v_mov_b32_e32 v6, v38                                      // 000000004154: 7E0C0326
	s_mov_b64 s[60:61], 0                                      // 000000004158: BEBC0180
	v_readlane_b32 s82, v3, 4                                  // 00000000415C: D2890052 00010903
	s_and_b32 s82, s82, 0xffffff                               // 000000004164: 8652FF52 00FFFFFF
	s_cmp_lt_u32 s82, s66                                      // 00000000416C: BF0A4252
	s_cselect_b32 s20, s36, s60                                // 000000004170: 85143C24
	v_readlane_b32 s82, v3, 5                                  // 000000004174: D2890052 00010B03
	s_and_b32 s82, s82, 0xffffff                               // 00000000417C: 8652FF52 00FFFFFF
	s_cmp_lt_u32 s82, s66                                      // 000000004184: BF0A4252
	s_cselect_b32 s21, s36, s60                                // 000000004188: 85153C24
	s_mov_b64 exec, s[20:21]                                   // 00000000418C: BEFE0114
	global_atomic_add_f32 v6, v58, s[8:9] offset:8             // 000000004190: DD348008 00083A06
	s_mov_b64 exec, s[36:37]                                   // 000000004198: BEFE0124
	v_mov_b32_e32 v6, v39                                      // 00000000419C: 7E0C0327
	s_mov_b64 s[60:61], 0                                      // 0000000041A0: BEBC0180
	v_readlane_b32 s82, v3, 6                                  // 0000000041A4: D2890052 00010D03
	s_and_b32 s82, s82, 0xffffff                               // 0000000041AC: 8652FF52 00FFFFFF
	s_cmp_lt_u32 s82, s66                                      // 0000000041B4: BF0A4252
	s_cselect_b32 s20, s36, s60                                // 0000000041B8: 85143C24
	v_readlane_b32 s82, v3, 7                                  // 0000000041BC: D2890052 00010F03
	s_and_b32 s82, s82, 0xffffff                               // 0000000041C4: 8652FF52 00FFFFFF
	s_cmp_lt_u32 s82, s66                                      // 0000000041CC: BF0A4252
	s_cselect_b32 s21, s36, s60                                // 0000000041D0: 85153C24
	s_mov_b64 exec, s[20:21]                                   // 0000000041D4: BEFE0114
	global_atomic_add_f32 v6, v59, s[8:9] offset:8             // 0000000041D8: DD348008 00083B06
	s_mov_b64 exec, s[36:37]                                   // 0000000041E0: BEFE0124
	s_branch label_0A49                                        // 0000000041E4: BF82044C

00000000000041e8 <label_05FD>:
	s_waitcnt vmcnt(0) lgkmcnt(0)                              // 0000000041E8: BF8C0070
	s_barrier                                                  // 0000000041EC: BF8A0000
	v_mfma_f32_16x16x32_fp8_fp8 v[44:47], a[32:33], a[0:1], v[44:47]// 0000000041F0: D3F3002C 1CB20120
	buffer_load_dwordx4 a[40:43], v40, s[84:87], 0 offen       // 0000000041F8: E05C1000 80952828
	v_mfma_f32_16x16x32_fp8_fp8 v[44:47], a[34:35], a[2:3], v[44:47]// 000000004200: D3F3002C 1CB20522
	v_mfma_f32_16x16x32_fp8_fp8 v[44:47], a[36:37], a[4:5], v[44:47]// 000000004208: D3F3002C 1CB20924
	v_mfma_f32_16x16x32_fp8_fp8 v[44:47], a[38:39], a[6:7], v[44:47]// 000000004210: D3F3002C 1CB20D26
	v_mfma_f32_16x16x32_fp8_fp8 v[48:51], a[32:33], a[8:9], v[48:51]// 000000004218: D3F30030 1CC21120
	buffer_load_dwordx4 a[44:47], v40, s[84:87], 0 offen offset:1024// 000000004220: E05C1400 80952C28
	buffer_load_dword v36, s[20:23], 0 offen lds               // 000000004228: E0511000 80050024
	s_add_u32 m0, 0x100, s48                                   // 000000004230: 807C30FF 00000100
	v_mfma_f32_16x16x32_fp8_fp8 v[48:51], a[34:35], a[10:11], v[48:51]// 000000004238: D3F30030 1CC21522
	s_add_u32 s60, 0x80, s80                                   // 000000004240: 803C50FF 00000080
	s_cmp_lt_u32 s60, s81                                      // 000000004248: BF0A513C
	s_cselect_b32 s83, s83, 0                                  // 00000000424C: 85538053
	v_mfma_f32_16x16x32_fp8_fp8 v[48:51], a[36:37], a[12:13], v[48:51]// 000000004250: D3F30030 1CC21924
	buffer_load_dword v37, s[20:23], 0 offen lds               // 000000004258: E0511000 80050025
	s_add_u32 m0, 0x200, s48                                   // 000000004260: 807C30FF 00000200
	v_mfma_f32_16x16x32_fp8_fp8 v[48:51], a[38:39], a[14:15], v[48:51]// 000000004268: D3F30030 1CC21D26
	buffer_load_dword v38, s[20:23], 0 offen lds               // 000000004270: E0511000 80050026
	s_add_u32 m0, 0x300, s48                                   // 000000004278: 807C30FF 00000300
	buffer_load_dword v39, s[20:23], 0 offen lds               // 000000004280: E0511000 80050027
	s_add_u32 m0, 0, s49                                       // 000000004288: 807C3180
	s_waitcnt vmcnt(4)                                         // 00000000428C: BF8C0F74
	v_mfma_f32_16x16x32_fp8_fp8 v[52:55], a[40:41], a[0:1], v[52:55]// 000000004290: D3F30034 1CD20128
	buffer_load_dwordx4 a[32:35], v40, s[24:27], 0 offen       // 000000004298: E05C1000 80862028
	v_mfma_f32_16x16x32_fp8_fp8 v[52:55], a[42:43], a[2:3], v[52:55]// 0000000042A0: D3F30034 1CD2052A
	v_mfma_f32_16x16x32_fp8_fp8 v[52:55], a[44:45], a[4:5], v[52:55]// 0000000042A8: D3F30034 1CD2092C
	ds_read_b128 a[16:19], v2 offset:4224                      // 0000000042B0: DBFE1080 10000002
	ds_read_b128 a[20:23], v2 offset:4288                      // 0000000042B8: DBFE10C0 14000002
	s_add_u32 s60, 0x180, s80                                  // 0000000042C0: 803C50FF 00000180
	s_cmp_lt_u32 s60, s81                                      // 0000000042C8: BF0A513C
	s_cselect_b32 s57, s57, 0                                  // 0000000042CC: 85398039
	v_mfma_f32_16x16x32_fp8_fp8 v[52:55], a[46:47], a[6:7], v[52:55]// 0000000042D0: D3F30034 1CD20D2E
	s_add_u32 s60, 0x100, s80                                  // 0000000042D8: 803C50FF 00000100
	s_cmp_lt_u32 s60, s81                                      // 0000000042E0: BF0A513C
	s_cselect_b32 s58, s58, 0                                  // 0000000042E4: 853A803A
	v_mfma_f32_16x16x32_fp8_fp8 v[56:59], a[40:41], a[8:9], v[56:59]// 0000000042E8: D3F30038 1CE21128
	buffer_load_dwordx4 a[36:39], v40, s[24:27], 0 offen offset:1024// 0000000042F0: E05C1400 80862428
	s_add_u32 s24, s58, s24                                    // 0000000042F8: 8018183A
	s_addc_u32 s25, 0, s25                                     // 0000000042FC: 82191980
	v_mfma_f32_16x16x32_fp8_fp8 v[56:59], a[42:43], a[10:11], v[56:59]// 000000004300: D3F30038 1CE2152A
	s_add_u32 s20, s57, s20                                    // 000000004308: 80141439
	s_addc_u32 s21, 0, s21                                     // 00000000430C: 82151580
	v_mfma_f32_16x16x32_fp8_fp8 v[56:59], a[44:45], a[12:13], v[56:59]// 000000004310: D3F30038 1CE2192C
	ds_read_b128 a[24:27], v2 offset:4736                      // 000000004318: DBFE1280 18000002
	ds_read_b128 a[28:31], v2 offset:4800                      // 000000004320: DBFE12C0 1C000002
	s_add_u32 s84, s83, s84                                    // 000000004328: 80545453
	s_addc_u32 s85, 0, s85                                     // 00000000432C: 82555580
	v_mfma_f32_16x16x32_fp8_fp8 v[56:59], a[46:47], a[14:15], v[56:59]// 000000004330: D3F30038 1CE21D2E
	s_addk_i32 s80, 0x80                                       // 000000004338: B7500080
	s_cmp_lt_i32 s80, s81                                      // 00000000433C: BF045150
	s_cbranch_scc0 label_06AC                                  // 000000004340: BF840058
	s_waitcnt vmcnt(0) lgkmcnt(0)                              // 000000004344: BF8C0070
	s_barrier                                                  // 000000004348: BF8A0000
	v_mfma_f32_16x16x32_fp8_fp8 v[44:47], a[32:33], a[16:17], v[44:47]// 00000000434C: D3F3002C 1CB22120
	buffer_load_dwordx4 a[40:43], v40, s[84:87], 0 offen       // 000000004354: E05C1000 80952828
	v_mfma_f32_16x16x32_fp8_fp8 v[44:47], a[34:35], a[18:19], v[44:47]// 00000000435C: D3F3002C 1CB22522
	v_mfma_f32_16x16x32_fp8_fp8 v[44:47], a[36:37], a[20:21], v[44:47]// 000000004364: D3F3002C 1CB22924
	v_mfma_f32_16x16x32_fp8_fp8 v[44:47], a[38:39], a[22:23], v[44:47]// 00000000436C: D3F3002C 1CB22D26
	v_mfma_f32_16x16x32_fp8_fp8 v[48:51], a[32:33], a[24:25], v[48:51]// 000000004374: D3F30030 1CC23120
	buffer_load_dwordx4 a[44:47], v40, s[84:87], 0 offen offset:1024// 00000000437C: E05C1400 80952C28
	buffer_load_dword v36, s[20:23], 0 offen lds               // 000000004384: E0511000 80050024
	s_add_u32 m0, 0x100, s49                                   // 00000000438C: 807C31FF 00000100
	v_mfma_f32_16x16x32_fp8_fp8 v[48:51], a[34:35], a[26:27], v[48:51]// 000000004394: D3F30030 1CC23522
	s_add_u32 s60, 0x80, s80                                   // 00000000439C: 803C50FF 00000080
	s_cmp_lt_u32 s60, s81                                      // 0000000043A4: BF0A513C
	s_cselect_b32 s83, s83, 0                                  // 0000000043A8: 85538053
	v_mfma_f32_16x16x32_fp8_fp8 v[48:51], a[36:37], a[28:29], v[48:51]// 0000000043AC: D3F30030 1CC23924
	buffer_load_dword v37, s[20:23], 0 offen lds               // 0000000043B4: E0511000 80050025
	s_add_u32 m0, 0x200, s49                                   // 0000000043BC: 807C31FF 00000200
	v_mfma_f32_16x16x32_fp8_fp8 v[48:51], a[38:39], a[30:31], v[48:51]// 0000000043C4: D3F30030 1CC23D26
	buffer_load_dword v38, s[20:23], 0 offen lds               // 0000000043CC: E0511000 80050026
	s_add_u32 m0, 0x300, s49                                   // 0000000043D4: 807C31FF 00000300
	buffer_load_dword v39, s[20:23], 0 offen lds               // 0000000043DC: E0511000 80050027
	s_add_u32 m0, 0, s48                                       // 0000000043E4: 807C3080
	s_waitcnt vmcnt(4)                                         // 0000000043E8: BF8C0F74
	v_mfma_f32_16x16x32_fp8_fp8 v[52:55], a[40:41], a[16:17], v[52:55]// 0000000043EC: D3F30034 1CD22128
	buffer_load_dwordx4 a[32:35], v40, s[24:27], 0 offen       // 0000000043F4: E05C1000 80862028
	v_mfma_f32_16x16x32_fp8_fp8 v[52:55], a[42:43], a[18:19], v[52:55]// 0000000043FC: D3F30034 1CD2252A
	v_mfma_f32_16x16x32_fp8_fp8 v[52:55], a[44:45], a[20:21], v[52:55]// 000000004404: D3F30034 1CD2292C
	ds_read_b128 a[0:3], v2                                    // 00000000440C: DBFE0000 00000002
	ds_read_b128 a[4:7], v2 offset:64                          // 000000004414: DBFE0040 04000002
	s_add_u32 s60, 0x180, s80                                  // 00000000441C: 803C50FF 00000180
	s_cmp_lt_u32 s60, s81                                      // 000000004424: BF0A513C
	s_cselect_b32 s57, s57, 0                                  // 000000004428: 85398039
	v_mfma_f32_16x16x32_fp8_fp8 v[52:55], a[46:47], a[22:23], v[52:55]// 00000000442C: D3F30034 1CD22D2E
	s_add_u32 s60, 0x100, s80                                  // 000000004434: 803C50FF 00000100
	s_cmp_lt_u32 s60, s81                                      // 00000000443C: BF0A513C
	s_cselect_b32 s58, s58, 0                                  // 000000004440: 853A803A
	v_mfma_f32_16x16x32_fp8_fp8 v[56:59], a[40:41], a[24:25], v[56:59]// 000000004444: D3F30038 1CE23128
	buffer_load_dwordx4 a[36:39], v40, s[24:27], 0 offen offset:1024// 00000000444C: E05C1400 80862428
	s_add_u32 s24, s58, s24                                    // 000000004454: 8018183A
	s_addc_u32 s25, 0, s25                                     // 000000004458: 82191980
	v_mfma_f32_16x16x32_fp8_fp8 v[56:59], a[42:43], a[26:27], v[56:59]// 00000000445C: D3F30038 1CE2352A
	s_add_u32 s20, s57, s20                                    // 000000004464: 80141439
	s_addc_u32 s21, 0, s21                                     // 000000004468: 82151580
	v_mfma_f32_16x16x32_fp8_fp8 v[56:59], a[44:45], a[28:29], v[56:59]// 00000000446C: D3F30038 1CE2392C
	ds_read_b128 a[8:11], v2 offset:512                        // 000000004474: DBFE0200 08000002
	ds_read_b128 a[12:15], v2 offset:576                       // 00000000447C: DBFE0240 0C000002
	s_add_u32 s84, s83, s84                                    // 000000004484: 80545453
	s_addc_u32 s85, 0, s85                                     // 000000004488: 82555580
	v_mfma_f32_16x16x32_fp8_fp8 v[56:59], a[46:47], a[30:31], v[56:59]// 00000000448C: D3F30038 1CE23D2E
	s_addk_i32 s80, 0x80                                       // 000000004494: B7500080
	s_cmp_lt_i32 s80, s81                                      // 000000004498: BF045150
	s_cbranch_scc0 label_06AC                                  // 00000000449C: BF840001
	s_branch label_05FD                                        // 0000000044A0: BF82FF51

00000000000044a4 <label_06AC>:
	v_mul_f32_dpp v44, v24, v44 row_newbcast:0 row_mask:0xf bank_mask:0xf// 0000000044A4: 0A5858FA FF015018
	v_mul_f32_dpp v45, v24, v45 row_newbcast:1 row_mask:0xf bank_mask:0xf// 0000000044AC: 0A5A5AFA FF015118
	v_mul_f32_dpp v46, v24, v46 row_newbcast:2 row_mask:0xf bank_mask:0xf// 0000000044B4: 0A5C5CFA FF015218
	v_mul_f32_dpp v47, v24, v47 row_newbcast:3 row_mask:0xf bank_mask:0xf// 0000000044BC: 0A5E5EFA FF015318
	v_mul_f32_dpp v48, v24, v48 row_newbcast:0 row_mask:0xf bank_mask:0xf// 0000000044C4: 0A6060FA FF015018
	v_mul_f32_dpp v49, v24, v49 row_newbcast:1 row_mask:0xf bank_mask:0xf// 0000000044CC: 0A6262FA FF015118
	v_mul_f32_dpp v50, v24, v50 row_newbcast:2 row_mask:0xf bank_mask:0xf// 0000000044D4: 0A6464FA FF015218
	v_mul_f32_dpp v51, v24, v51 row_newbcast:3 row_mask:0xf bank_mask:0xf// 0000000044DC: 0A6666FA FF015318
	v_mul_f32_dpp v52, v26, v52 row_newbcast:0 row_mask:0xf bank_mask:0xf// 0000000044E4: 0A6868FA FF01501A
	v_mul_f32_dpp v53, v26, v53 row_newbcast:1 row_mask:0xf bank_mask:0xf// 0000000044EC: 0A6A6AFA FF01511A
	v_mul_f32_dpp v54, v26, v54 row_newbcast:2 row_mask:0xf bank_mask:0xf// 0000000044F4: 0A6C6CFA FF01521A
	v_mul_f32_dpp v55, v26, v55 row_newbcast:3 row_mask:0xf bank_mask:0xf// 0000000044FC: 0A6E6EFA FF01531A
	v_mul_f32_dpp v56, v26, v56 row_newbcast:0 row_mask:0xf bank_mask:0xf// 000000004504: 0A7070FA FF01501A
	v_mul_f32_dpp v57, v26, v57 row_newbcast:1 row_mask:0xf bank_mask:0xf// 00000000450C: 0A7272FA FF01511A
	v_mul_f32_dpp v58, v26, v58 row_newbcast:2 row_mask:0xf bank_mask:0xf// 000000004514: 0A7474FA FF01521A
	v_mul_f32_dpp v59, v26, v59 row_newbcast:3 row_mask:0xf bank_mask:0xf// 00000000451C: 0A7676FA FF01531A
	v_mov_b32_e32 v4, v30                                      // 000000004524: 7E08031E
	v_mov_b32_e32 v5, v4                                       // 000000004528: 7E0A0304
	v_pk_mul_f32 v[44:45], v[4:5], v[44:45]                    // 00000000452C: D3B1402C 18025904
	v_pk_mul_f32 v[52:53], v[4:5], v[52:53]                    // 000000004534: D3B14034 18026904
	v_pk_mul_f32 v[46:47], v[4:5], v[46:47]                    // 00000000453C: D3B1402E 18025D04
	v_pk_mul_f32 v[54:55], v[4:5], v[54:55]                    // 000000004544: D3B14036 18026D04
	v_mov_b32_e32 v4, v31                                      // 00000000454C: 7E08031F
	v_mov_b32_e32 v5, v4                                       // 000000004550: 7E0A0304
	v_pk_mul_f32 v[48:49], v[4:5], v[48:49]                    // 000000004554: D3B14030 18026104
	v_pk_mul_f32 v[56:57], v[4:5], v[56:57]                    // 00000000455C: D3B14038 18027104
	v_pk_mul_f32 v[50:51], v[4:5], v[50:51]                    // 000000004564: D3B14032 18026504
	v_pk_mul_f32 v[58:59], v[4:5], v[58:59]                    // 00000000456C: D3B1403A 18027504
	s_cmp_eq_u32 s88, 0                                        // 000000004574: BF068058
	s_cbranch_scc0 label_0877                                  // 000000004578: BF840195
	s_cmp_eq_u32 s89, 0                                        // 00000000457C: BF068059
	s_cbranch_scc1 label_0739                                  // 000000004580: BF850055
	v_mov_b32_e32 v8, v1                                       // 000000004584: 7E100301
	v_mov_b32_e32 v9, v1                                       // 000000004588: 7E120301
	s_mov_b32 s60, s6                                          // 00000000458C: BEBC0006
	s_mov_b32 s61, s6                                          // 000000004590: BEBD0006
	v_pk_mul_f32 v[4:5], v[44:45], v[44:45]                    // 000000004594: D3B14004 1802592C
	v_pk_mul_f32 v[6:7], v[46:47], v[46:47]                    // 00000000459C: D3B14006 18025D2E
	v_pk_fma_f32 v[4:5], v[4:5], s[78:79], v[8:9]              // 0000000045A4: D3B04004 1C209D04
	v_pk_fma_f32 v[6:7], v[6:7], s[78:79], v[8:9]              // 0000000045AC: D3B04006 1C209D06
	v_pk_mul_f32 v[4:5], v[4:5], v[44:45]                      // 0000000045B4: D3B14004 18025904
	v_pk_mul_f32 v[6:7], v[6:7], v[46:47]                      // 0000000045BC: D3B14006 18025D06
	v_pk_mul_f32 v[4:5], v[4:5], s[60:61]                      // 0000000045C4: D3B14004 18007904
	v_pk_mul_f32 v[6:7], v[6:7], s[60:61]                      // 0000000045CC: D3B14006 18007906
	v_exp_f32_e32 v4, v4                                       // 0000000045D4: 7E084104
	v_exp_f32_e32 v5, v5                                       // 0000000045D8: 7E0A4105
	v_exp_f32_e32 v6, v6                                       // 0000000045DC: 7E0C4106
	v_exp_f32_e32 v7, v7                                       // 0000000045E0: 7E0E4107
	v_add_f32_e64 v4, v4, 1.0                                  // 0000000045E4: D1010004 0001E504
	v_add_f32_e64 v5, v5, 1.0                                  // 0000000045EC: D1010005 0001E505
	v_add_f32_e64 v6, v6, 1.0                                  // 0000000045F4: D1010006 0001E506
	v_add_f32_e64 v7, v7, 1.0                                  // 0000000045FC: D1010007 0001E507
	v_rcp_f32_e32 v4, v4                                       // 000000004604: 7E084504
	v_rcp_f32_e32 v5, v5                                       // 000000004608: 7E0A4505
	v_rcp_f32_e32 v6, v6                                       // 00000000460C: 7E0C4506
	v_rcp_f32_e32 v7, v7                                       // 000000004610: 7E0E4507
	v_mul_f32_e32 v44, v44, v4                                 // 000000004614: 0A58092C
	v_mul_f32_e32 v45, v45, v5                                 // 000000004618: 0A5A0B2D
	v_mul_f32_e32 v46, v46, v6                                 // 00000000461C: 0A5C0D2E
	v_mul_f32_e32 v47, v47, v7                                 // 000000004620: 0A5E0F2F
	v_mul_f32_e32 v44, v44, v52                                // 000000004624: 0A58692C
	v_mul_f32_e32 v45, v45, v53                                // 000000004628: 0A5A6B2D
	v_mul_f32_e32 v46, v46, v54                                // 00000000462C: 0A5C6D2E
	v_mul_f32_e32 v47, v47, v55                                // 000000004630: 0A5E6F2F
	v_pk_mul_f32 v[4:5], v[48:49], v[48:49]                    // 000000004634: D3B14004 18026130
	v_pk_mul_f32 v[6:7], v[50:51], v[50:51]                    // 00000000463C: D3B14006 18026532
	v_pk_fma_f32 v[4:5], v[4:5], s[78:79], v[8:9]              // 000000004644: D3B04004 1C209D04
	v_pk_fma_f32 v[6:7], v[6:7], s[78:79], v[8:9]              // 00000000464C: D3B04006 1C209D06
	v_pk_mul_f32 v[4:5], v[4:5], v[48:49]                      // 000000004654: D3B14004 18026104
	v_pk_mul_f32 v[6:7], v[6:7], v[50:51]                      // 00000000465C: D3B14006 18026506
	v_pk_mul_f32 v[4:5], v[4:5], s[60:61]                      // 000000004664: D3B14004 18007904
	v_pk_mul_f32 v[6:7], v[6:7], s[60:61]                      // 00000000466C: D3B14006 18007906
	v_exp_f32_e32 v4, v4                                       // 000000004674: 7E084104
	v_exp_f32_e32 v5, v5                                       // 000000004678: 7E0A4105
	v_exp_f32_e32 v6, v6                                       // 00000000467C: 7E0C4106
	v_exp_f32_e32 v7, v7                                       // 000000004680: 7E0E4107
	v_add_f32_e64 v4, v4, 1.0                                  // 000000004684: D1010004 0001E504
	v_add_f32_e64 v5, v5, 1.0                                  // 00000000468C: D1010005 0001E505
	v_add_f32_e64 v6, v6, 1.0                                  // 000000004694: D1010006 0001E506
	v_add_f32_e64 v7, v7, 1.0                                  // 00000000469C: D1010007 0001E507
	v_rcp_f32_e32 v4, v4                                       // 0000000046A4: 7E084504
	v_rcp_f32_e32 v5, v5                                       // 0000000046A8: 7E0A4505
	v_rcp_f32_e32 v6, v6                                       // 0000000046AC: 7E0C4506
	v_rcp_f32_e32 v7, v7                                       // 0000000046B0: 7E0E4507
	v_mul_f32_e32 v48, v48, v4                                 // 0000000046B4: 0A600930
	v_mul_f32_e32 v49, v49, v5                                 // 0000000046B8: 0A620B31
	v_mul_f32_e32 v50, v50, v6                                 // 0000000046BC: 0A640D32
	v_mul_f32_e32 v51, v51, v7                                 // 0000000046C0: 0A660F33
	v_mul_f32_e32 v48, v48, v56                                // 0000000046C4: 0A607130
	v_mul_f32_e32 v49, v49, v57                                // 0000000046C8: 0A627331
	v_mul_f32_e32 v50, v50, v58                                // 0000000046CC: 0A647532
	v_mul_f32_e32 v51, v51, v59                                // 0000000046D0: 0A667733
	s_branch label_0779                                        // 0000000046D4: BF820040

00000000000046d8 <label_0739>:
	v_mul_f32_e64 v4, -v44, s6                                 // 0000000046D8: D1050004 20000D2C
	v_mul_f32_e64 v5, -v45, s6                                 // 0000000046E0: D1050005 20000D2D
	v_mul_f32_e64 v6, -v46, s6                                 // 0000000046E8: D1050006 20000D2E
	v_mul_f32_e64 v7, -v47, s6                                 // 0000000046F0: D1050007 20000D2F
	v_exp_f32_e32 v4, v4                                       // 0000000046F8: 7E084104
	v_exp_f32_e32 v5, v5                                       // 0000000046FC: 7E0A4105
	v_exp_f32_e32 v6, v6                                       // 000000004700: 7E0C4106
	v_exp_f32_e32 v7, v7                                       // 000000004704: 7E0E4107
	v_add_f32_e64 v4, v4, 1.0                                  // 000000004708: D1010004 0001E504
	v_add_f32_e64 v5, v5, 1.0                                  // 000000004710: D1010005 0001E505
	v_add_f32_e64 v6, v6, 1.0                                  // 000000004718: D1010006 0001E506
	v_add_f32_e64 v7, v7, 1.0                                  // 000000004720: D1010007 0001E507
	v_rcp_f32_e32 v4, v4                                       // 000000004728: 7E084504
	v_rcp_f32_e32 v5, v5                                       // 00000000472C: 7E0A4505
	v_rcp_f32_e32 v6, v6                                       // 000000004730: 7E0C4506
	v_rcp_f32_e32 v7, v7                                       // 000000004734: 7E0E4507
	v_mul_f32_e32 v44, v44, v4                                 // 000000004738: 0A58092C
	v_mul_f32_e32 v45, v45, v5                                 // 00000000473C: 0A5A0B2D
	v_mul_f32_e32 v46, v46, v6                                 // 000000004740: 0A5C0D2E
	v_mul_f32_e32 v47, v47, v7                                 // 000000004744: 0A5E0F2F
	v_mul_f32_e32 v44, v44, v52                                // 000000004748: 0A58692C
	v_mul_f32_e32 v45, v45, v53                                // 00000000474C: 0A5A6B2D
	v_mul_f32_e32 v46, v46, v54                                // 000000004750: 0A5C6D2E
	v_mul_f32_e32 v47, v47, v55                                // 000000004754: 0A5E6F2F
	v_mul_f32_e64 v4, -v48, s6                                 // 000000004758: D1050004 20000D30
	v_mul_f32_e64 v5, -v49, s6                                 // 000000004760: D1050005 20000D31
	v_mul_f32_e64 v6, -v50, s6                                 // 000000004768: D1050006 20000D32
	v_mul_f32_e64 v7, -v51, s6                                 // 000000004770: D1050007 20000D33
	v_exp_f32_e32 v4, v4                                       // 000000004778: 7E084104
	v_exp_f32_e32 v5, v5                                       // 00000000477C: 7E0A4105
	v_exp_f32_e32 v6, v6                                       // 000000004780: 7E0C4106
	v_exp_f32_e32 v7, v7                                       // 000000004784: 7E0E4107
	v_add_f32_e64 v4, v4, 1.0                                  // 000000004788: D1010004 0001E504
	v_add_f32_e64 v5, v5, 1.0                                  // 000000004790: D1010005 0001E505
	v_add_f32_e64 v6, v6, 1.0                                  // 000000004798: D1010006 0001E506
	v_add_f32_e64 v7, v7, 1.0                                  // 0000000047A0: D1010007 0001E507
	v_rcp_f32_e32 v4, v4                                       // 0000000047A8: 7E084504
	v_rcp_f32_e32 v5, v5                                       // 0000000047AC: 7E0A4505
	v_rcp_f32_e32 v6, v6                                       // 0000000047B0: 7E0C4506
	v_rcp_f32_e32 v7, v7                                       // 0000000047B4: 7E0E4507
	v_mul_f32_e32 v48, v48, v4                                 // 0000000047B8: 0A600930
	v_mul_f32_e32 v49, v49, v5                                 // 0000000047BC: 0A620B31
	v_mul_f32_e32 v50, v50, v6                                 // 0000000047C0: 0A640D32
	v_mul_f32_e32 v51, v51, v7                                 // 0000000047C4: 0A660F33
	v_mul_f32_e32 v48, v48, v56                                // 0000000047C8: 0A607130
	v_mul_f32_e32 v49, v49, v57                                // 0000000047CC: 0A627331
	v_mul_f32_e32 v50, v50, v58                                // 0000000047D0: 0A647532
	v_mul_f32_e32 v51, v51, v59                                // 0000000047D4: 0A667733

00000000000047d8 <label_0779>:
	v_cmp_u_f32_e64 s[46:47], v44, v44                         // 0000000047D8: D048002E 0002592C
	v_add3_u32 v16, v44, v19, 1                                // 0000000047E0: D1FF0010 0206272C
	v_cndmask_b32_e64 v4, v16, v18, s[46:47]                   // 0000000047E8: D1000004 00BA2510
	v_cmp_u_f32_e64 s[46:47], v45, v45                         // 0000000047F0: D048002E 00025B2D
	v_add3_u32 v16, v45, v19, 1                                // 0000000047F8: D1FF0010 0206272D
	v_cndmask_b32_e64 v5, v16, v18, s[46:47]                   // 000000004800: D1000005 00BA2510
	v_perm_b32 v44, v5, v4, s52                                // 000000004808: D1ED002C 00D20905
	v_cmp_u_f32_e64 s[46:47], v46, v46                         // 000000004810: D048002E 00025D2E
	v_add3_u32 v16, v46, v19, 1                                // 000000004818: D1FF0010 0206272E
	v_cndmask_b32_e64 v4, v16, v18, s[46:47]                   // 000000004820: D1000004 00BA2510
	v_cmp_u_f32_e64 s[46:47], v47, v47                         // 000000004828: D048002E 00025F2F
	v_add3_u32 v16, v47, v19, 1                                // 000000004830: D1FF0010 0206272F
	v_cndmask_b32_e64 v5, v16, v18, s[46:47]                   // 000000004838: D1000005 00BA2510
	v_perm_b32 v45, v5, v4, s52                                // 000000004840: D1ED002D 00D20905
	v_cmp_u_f32_e64 s[46:47], v48, v48                         // 000000004848: D048002E 00026130
	v_add3_u32 v16, v48, v19, 1                                // 000000004850: D1FF0010 02062730
	v_cndmask_b32_e64 v4, v16, v18, s[46:47]                   // 000000004858: D1000004 00BA2510
	v_cmp_u_f32_e64 s[46:47], v49, v49                         // 000000004860: D048002E 00026331
	v_add3_u32 v16, v49, v19, 1                                // 000000004868: D1FF0010 02062731
	v_cndmask_b32_e64 v5, v16, v18, s[46:47]                   // 000000004870: D1000005 00BA2510
	v_perm_b32 v46, v5, v4, s52                                // 000000004878: D1ED002E 00D20905
	v_cmp_u_f32_e64 s[46:47], v50, v50                         // 000000004880: D048002E 00026532
	v_add3_u32 v16, v50, v19, 1                                // 000000004888: D1FF0010 02062732
	v_cndmask_b32_e64 v4, v16, v18, s[46:47]                   // 000000004890: D1000004 00BA2510
	v_cmp_u_f32_e64 s[46:47], v51, v51                         // 000000004898: D048002E 00026733
	v_add3_u32 v16, v51, v19, 1                                // 0000000048A0: D1FF0010 02062733
	v_cndmask_b32_e64 v5, v16, v18, s[46:47]                   // 0000000048A8: D1000005 00BA2510
	v_perm_b32 v47, v5, v4, s52                                // 0000000048B0: D1ED002F 00D20905
	ds_write_b64 v20, v[44:45]                                 // 0000000048B8: D89A0000 00002C14
	ds_write_b64 v20, v[46:47] offset:2176                     // 0000000048C0: D89A0880 00002E14
	v_lshrrev_b32_e32 v4, 5, v0                                // 0000000048C8: 20080085
	v_xor_b32_e32 v5, 1, v4                                    // 0000000048CC: 2A0A0881
	s_mul_i32 s60, s65, 2                                      // 0000000048D0: 923C8241
	s_cmp_eq_u32 s88, 0                                        // 0000000048D4: BF068058
	s_cselect_b32 s61, 1, 4                                    // 0000000048D8: 853D8481
	s_mul_i32 s60, s61, s60                                    // 0000000048DC: 923C3C3D
	v_readlane_b32 s82, v3, 0                                  // 0000000048E0: D2890052 00010103
	s_lshr_b32 s61, s82, 24                                    // 0000000048E8: 8F3D9852
	s_and_b32 s82, s82, 0xffffff                               // 0000000048EC: 8652FF52 00FFFFFF
	s_mul_i32 s82, s82, s71                                    // 0000000048F4: 92524752
	s_mul_i32 s61, s60, s61                                    // 0000000048F8: 923D3D3C
	s_add_u32 s82, s82, s61                                    // 0000000048FC: 80523D52
	v_mul_lo_u32 v6, v5, s82                                   // 000000004900: D2850006 0000A505
	v_readlane_b32 s82, v3, 1                                  // 000000004908: D2890052 00010303
	s_lshr_b32 s61, s82, 24                                    // 000000004910: 8F3D9852
	s_and_b32 s82, s82, 0xffffff                               // 000000004914: 8652FF52 00FFFFFF
	s_mul_i32 s82, s82, s71                                    // 00000000491C: 92524752
	s_mul_i32 s61, s60, s61                                    // 000000004920: 923D3D3C
	s_add_u32 s82, s82, s61                                    // 000000004924: 80523D52
	v_mul_lo_u32 v7, v4, s82                                   // 000000004928: D2850007 0000A504
	v_add_u32_e32 v36, v6, v7                                  // 000000004930: 68480F06
	v_readlane_b32 s82, v3, 2                                  // 000000004934: D2890052 00010503
	s_lshr_b32 s61, s82, 24                                    // 00000000493C: 8F3D9852
	s_and_b32 s82, s82, 0xffffff                               // 000000004940: 8652FF52 00FFFFFF
	s_mul_i32 s82, s82, s71                                    // 000000004948: 92524752
	s_mul_i32 s61, s60, s61                                    // 00000000494C: 923D3D3C
	s_add_u32 s82, s82, s61                                    // 000000004950: 80523D52
	v_mul_lo_u32 v6, v5, s82                                   // 000000004954: D2850006 0000A505
	v_readlane_b32 s82, v3, 3                                  // 00000000495C: D2890052 00010703
	s_lshr_b32 s61, s82, 24                                    // 000000004964: 8F3D9852
	s_and_b32 s82, s82, 0xffffff                               // 000000004968: 8652FF52 00FFFFFF
	s_mul_i32 s82, s82, s71                                    // 000000004970: 92524752
	s_mul_i32 s61, s60, s61                                    // 000000004974: 923D3D3C
	s_add_u32 s82, s82, s61                                    // 000000004978: 80523D52
	v_mul_lo_u32 v7, v4, s82                                   // 00000000497C: D2850007 0000A504
	v_add_u32_e32 v37, v6, v7                                  // 000000004984: 684A0F06
	v_readlane_b32 s82, v3, 4                                  // 000000004988: D2890052 00010903
	s_lshr_b32 s61, s82, 24                                    // 000000004990: 8F3D9852
	s_and_b32 s82, s82, 0xffffff                               // 000000004994: 8652FF52 00FFFFFF
	s_mul_i32 s82, s82, s71                                    // 00000000499C: 92524752
	s_mul_i32 s61, s60, s61                                    // 0000000049A0: 923D3D3C
	s_add_u32 s82, s82, s61                                    // 0000000049A4: 80523D52
	v_mul_lo_u32 v6, v5, s82                                   // 0000000049A8: D2850006 0000A505
	v_readlane_b32 s82, v3, 5                                  // 0000000049B0: D2890052 00010B03
	s_lshr_b32 s61, s82, 24                                    // 0000000049B8: 8F3D9852
	s_and_b32 s82, s82, 0xffffff                               // 0000000049BC: 8652FF52 00FFFFFF
	s_mul_i32 s82, s82, s71                                    // 0000000049C4: 92524752
	s_mul_i32 s61, s60, s61                                    // 0000000049C8: 923D3D3C
	s_add_u32 s82, s82, s61                                    // 0000000049CC: 80523D52
	v_mul_lo_u32 v7, v4, s82                                   // 0000000049D0: D2850007 0000A504
	v_add_u32_e32 v38, v6, v7                                  // 0000000049D8: 684C0F06
	v_readlane_b32 s82, v3, 6                                  // 0000000049DC: D2890052 00010D03
	s_lshr_b32 s61, s82, 24                                    // 0000000049E4: 8F3D9852
	s_and_b32 s82, s82, 0xffffff                               // 0000000049E8: 8652FF52 00FFFFFF
	s_mul_i32 s82, s82, s71                                    // 0000000049F0: 92524752
	s_mul_i32 s61, s60, s61                                    // 0000000049F4: 923D3D3C
	s_add_u32 s82, s82, s61                                    // 0000000049F8: 80523D52
	v_mul_lo_u32 v6, v5, s82                                   // 0000000049FC: D2850006 0000A505
	v_readlane_b32 s82, v3, 7                                  // 000000004A04: D2890052 00010F03
	s_lshr_b32 s61, s82, 24                                    // 000000004A0C: 8F3D9852
	s_and_b32 s82, s82, 0xffffff                               // 000000004A10: 8652FF52 00FFFFFF
	s_mul_i32 s82, s82, s71                                    // 000000004A18: 92524752
	s_mul_i32 s61, s60, s61                                    // 000000004A1C: 923D3D3C
	s_add_u32 s82, s82, s61                                    // 000000004A20: 80523D52
	v_mul_lo_u32 v7, v4, s82                                   // 000000004A24: D2850007 0000A504
	v_add_u32_e32 v39, v6, v7                                  // 000000004A2C: 684E0F06
	v_and_b32_e32 v4, 31, v0                                   // 000000004A30: 2608009F
	v_lshrrev_b32_e32 v4, 1, v4                                // 000000004A34: 20080881
	s_cmp_eq_u32 s88, 0                                        // 000000004A38: BF068058
	s_cselect_b32 s61, 2, 4                                    // 000000004A3C: 853D8482
	v_mul_lo_u32 v4, v4, s61                                   // 000000004A40: D2850004 00007B04
	v_and_b32_e64 v5, v0, 1                                    // 000000004A48: D1130005 00010300
	v_add_u32_e32 v4, v4, v5                                   // 000000004A50: 68080B04
	v_lshlrev_b32_e32 v4, 2, v4                                // 000000004A54: 24080882
	v_add_u32_e32 v36, v36, v4                                 // 000000004A58: 68480924
	v_add_u32_e32 v37, v37, v4                                 // 000000004A5C: 684A0925
	v_add_u32_e32 v38, v38, v4                                 // 000000004A60: 684C0926
	v_add_u32_e32 v39, v39, v4                                 // 000000004A64: 684E0927
	s_waitcnt lgkmcnt(0)                                       // 000000004A68: BF8CC07F
	s_barrier                                                  // 000000004A6C: BF8A0000
	ds_read_b32 v44, v21                                       // 000000004A70: D86C0000 2C000015
	ds_read_b32 v45, v21 offset:64                             // 000000004A78: D86C0040 2D000015
	ds_read_b32 v46, v21 offset:2176                           // 000000004A80: D86C0880 2E000015
	ds_read_b32 v47, v21 offset:2240                           // 000000004A88: D86C08C0 2F000015
	s_waitcnt lgkmcnt(0)                                       // 000000004A90: BF8CC07F
	s_mov_b32 s36, -1                                          // 000000004A94: BEA400C1
	s_mov_b32 s37, -1                                          // 000000004A98: BEA500C1
	v_mov_b32_e32 v7, 0                                        // 000000004A9C: 7E0E0280
	s_or_b32 s9, s9, 0x40000                                   // 000000004AA0: 8709FF09 00040000
	s_mov_b64 exec, s[36:37]                                   // 000000004AA8: BEFE0124
	v_mov_b32_e32 v6, v36                                      // 000000004AAC: 7E0C0324
	s_mov_b64 s[60:61], 0                                      // 000000004AB0: BEBC0180
	v_readlane_b32 s82, v3, 0                                  // 000000004AB4: D2890052 00010103
	s_and_b32 s82, s82, 0xffffff                               // 000000004ABC: 8652FF52 00FFFFFF
	s_cmp_lt_u32 s82, s66                                      // 000000004AC4: BF0A4252
	s_cselect_b32 s20, s36, s60                                // 000000004AC8: 85143C24
	v_readlane_b32 s82, v3, 1                                  // 000000004ACC: D2890052 00010303
	s_and_b32 s82, s82, 0xffffff                               // 000000004AD4: 8652FF52 00FFFFFF
	s_cmp_lt_u32 s82, s66                                      // 000000004ADC: BF0A4252
	s_cselect_b32 s21, s36, s60                                // 000000004AE0: 85153C24
	s_mov_b64 exec, s[20:21]                                   // 000000004AE4: BEFE0114
	buffer_store_dword v44, v6, s[8:11], 0 offen               // 000000004AE8: E0701000 80022C06
	s_mov_b64 exec, s[36:37]                                   // 000000004AF0: BEFE0124
	v_mov_b32_e32 v6, v37                                      // 000000004AF4: 7E0C0325
	s_mov_b64 s[60:61], 0                                      // 000000004AF8: BEBC0180
	v_readlane_b32 s82, v3, 2                                  // 000000004AFC: D2890052 00010503
	s_and_b32 s82, s82, 0xffffff                               // 000000004B04: 8652FF52 00FFFFFF
	s_cmp_lt_u32 s82, s66                                      // 000000004B0C: BF0A4252
	s_cselect_b32 s20, s36, s60                                // 000000004B10: 85143C24
	v_readlane_b32 s82, v3, 3                                  // 000000004B14: D2890052 00010703
	s_and_b32 s82, s82, 0xffffff                               // 000000004B1C: 8652FF52 00FFFFFF
	s_cmp_lt_u32 s82, s66                                      // 000000004B24: BF0A4252
	s_cselect_b32 s21, s36, s60                                // 000000004B28: 85153C24
	s_mov_b64 exec, s[20:21]                                   // 000000004B2C: BEFE0114
	buffer_store_dword v45, v6, s[8:11], 0 offen               // 000000004B30: E0701000 80022D06
	s_mov_b64 exec, s[36:37]                                   // 000000004B38: BEFE0124
	v_mov_b32_e32 v6, v38                                      // 000000004B3C: 7E0C0326
	s_mov_b64 s[60:61], 0                                      // 000000004B40: BEBC0180
	v_readlane_b32 s82, v3, 4                                  // 000000004B44: D2890052 00010903
	s_and_b32 s82, s82, 0xffffff                               // 000000004B4C: 8652FF52 00FFFFFF
	s_cmp_lt_u32 s82, s66                                      // 000000004B54: BF0A4252
	s_cselect_b32 s20, s36, s60                                // 000000004B58: 85143C24
	v_readlane_b32 s82, v3, 5                                  // 000000004B5C: D2890052 00010B03
	s_and_b32 s82, s82, 0xffffff                               // 000000004B64: 8652FF52 00FFFFFF
	s_cmp_lt_u32 s82, s66                                      // 000000004B6C: BF0A4252
	s_cselect_b32 s21, s36, s60                                // 000000004B70: 85153C24
	s_mov_b64 exec, s[20:21]                                   // 000000004B74: BEFE0114
	buffer_store_dword v46, v6, s[8:11], 0 offen               // 000000004B78: E0701000 80022E06
	s_mov_b64 exec, s[36:37]                                   // 000000004B80: BEFE0124
	v_mov_b32_e32 v6, v39                                      // 000000004B84: 7E0C0327
	s_mov_b64 s[60:61], 0                                      // 000000004B88: BEBC0180
	v_readlane_b32 s82, v3, 6                                  // 000000004B8C: D2890052 00010D03
	s_and_b32 s82, s82, 0xffffff                               // 000000004B94: 8652FF52 00FFFFFF
	s_cmp_lt_u32 s82, s66                                      // 000000004B9C: BF0A4252
	s_cselect_b32 s20, s36, s60                                // 000000004BA0: 85143C24
	v_readlane_b32 s82, v3, 7                                  // 000000004BA4: D2890052 00010F03
	s_and_b32 s82, s82, 0xffffff                               // 000000004BAC: 8652FF52 00FFFFFF
	s_cmp_lt_u32 s82, s66                                      // 000000004BB4: BF0A4252
	s_cselect_b32 s21, s36, s60                                // 000000004BB8: 85153C24
	s_mov_b64 exec, s[20:21]                                   // 000000004BBC: BEFE0114
	buffer_store_dword v47, v6, s[8:11], 0 offen               // 000000004BC0: E0701000 80022F06
	s_mov_b64 exec, s[36:37]                                   // 000000004BC8: BEFE0124
	s_branch label_0A49                                        // 000000004BCC: BF8201D2

0000000000004bd0 <label_0877>:
	ds_write_b64 v20, v[44:45]                                 // 000000004BD0: D89A0000 00002C14
	ds_write_b64 v20, v[48:49] offset:2176                     // 000000004BD8: D89A0880 00003014
	v_lshrrev_b32_e32 v4, 5, v0                                // 000000004BE0: 20080085
	v_xor_b32_e32 v5, 1, v4                                    // 000000004BE4: 2A0A0881
	s_mul_i32 s60, s65, 2                                      // 000000004BE8: 923C8241
	s_cmp_eq_u32 s88, 0                                        // 000000004BEC: BF068058
	s_cselect_b32 s61, 1, 4                                    // 000000004BF0: 853D8481
	s_mul_i32 s60, s61, s60                                    // 000000004BF4: 923C3C3D
	v_readlane_b32 s82, v3, 0                                  // 000000004BF8: D2890052 00010103
	s_lshr_b32 s61, s82, 24                                    // 000000004C00: 8F3D9852
	s_and_b32 s82, s82, 0xffffff                               // 000000004C04: 8652FF52 00FFFFFF
	s_mul_i32 s82, s82, s71                                    // 000000004C0C: 92524752
	s_mul_i32 s61, s60, s61                                    // 000000004C10: 923D3D3C
	s_add_u32 s82, s82, s61                                    // 000000004C14: 80523D52
	v_mul_lo_u32 v6, v5, s82                                   // 000000004C18: D2850006 0000A505
	v_readlane_b32 s82, v3, 1                                  // 000000004C20: D2890052 00010303
	s_lshr_b32 s61, s82, 24                                    // 000000004C28: 8F3D9852
	s_and_b32 s82, s82, 0xffffff                               // 000000004C2C: 8652FF52 00FFFFFF
	s_mul_i32 s82, s82, s71                                    // 000000004C34: 92524752
	s_mul_i32 s61, s60, s61                                    // 000000004C38: 923D3D3C
	s_add_u32 s82, s82, s61                                    // 000000004C3C: 80523D52
	v_mul_lo_u32 v7, v4, s82                                   // 000000004C40: D2850007 0000A504
	v_add_u32_e32 v36, v6, v7                                  // 000000004C48: 68480F06
	v_readlane_b32 s82, v3, 2                                  // 000000004C4C: D2890052 00010503
	s_lshr_b32 s61, s82, 24                                    // 000000004C54: 8F3D9852
	s_and_b32 s82, s82, 0xffffff                               // 000000004C58: 8652FF52 00FFFFFF
	s_mul_i32 s82, s82, s71                                    // 000000004C60: 92524752
	s_mul_i32 s61, s60, s61                                    // 000000004C64: 923D3D3C
	s_add_u32 s82, s82, s61                                    // 000000004C68: 80523D52
	v_mul_lo_u32 v6, v5, s82                                   // 000000004C6C: D2850006 0000A505
	v_readlane_b32 s82, v3, 3                                  // 000000004C74: D2890052 00010703
	s_lshr_b32 s61, s82, 24                                    // 000000004C7C: 8F3D9852
	s_and_b32 s82, s82, 0xffffff                               // 000000004C80: 8652FF52 00FFFFFF
	s_mul_i32 s82, s82, s71                                    // 000000004C88: 92524752
	s_mul_i32 s61, s60, s61                                    // 000000004C8C: 923D3D3C
	s_add_u32 s82, s82, s61                                    // 000000004C90: 80523D52
	v_mul_lo_u32 v7, v4, s82                                   // 000000004C94: D2850007 0000A504
	v_add_u32_e32 v37, v6, v7                                  // 000000004C9C: 684A0F06
	v_readlane_b32 s82, v3, 4                                  // 000000004CA0: D2890052 00010903
	s_lshr_b32 s61, s82, 24                                    // 000000004CA8: 8F3D9852
	s_and_b32 s82, s82, 0xffffff                               // 000000004CAC: 8652FF52 00FFFFFF
	s_mul_i32 s82, s82, s71                                    // 000000004CB4: 92524752
	s_mul_i32 s61, s60, s61                                    // 000000004CB8: 923D3D3C
	s_add_u32 s82, s82, s61                                    // 000000004CBC: 80523D52
	v_mul_lo_u32 v6, v5, s82                                   // 000000004CC0: D2850006 0000A505
	v_readlane_b32 s82, v3, 5                                  // 000000004CC8: D2890052 00010B03
	s_lshr_b32 s61, s82, 24                                    // 000000004CD0: 8F3D9852
	s_and_b32 s82, s82, 0xffffff                               // 000000004CD4: 8652FF52 00FFFFFF
	s_mul_i32 s82, s82, s71                                    // 000000004CDC: 92524752
	s_mul_i32 s61, s60, s61                                    // 000000004CE0: 923D3D3C
	s_add_u32 s82, s82, s61                                    // 000000004CE4: 80523D52
	v_mul_lo_u32 v7, v4, s82                                   // 000000004CE8: D2850007 0000A504
	v_add_u32_e32 v38, v6, v7                                  // 000000004CF0: 684C0F06
	v_readlane_b32 s82, v3, 6                                  // 000000004CF4: D2890052 00010D03
	s_lshr_b32 s61, s82, 24                                    // 000000004CFC: 8F3D9852
	s_and_b32 s82, s82, 0xffffff                               // 000000004D00: 8652FF52 00FFFFFF
	s_mul_i32 s82, s82, s71                                    // 000000004D08: 92524752
	s_mul_i32 s61, s60, s61                                    // 000000004D0C: 923D3D3C
	s_add_u32 s82, s82, s61                                    // 000000004D10: 80523D52
	v_mul_lo_u32 v6, v5, s82                                   // 000000004D14: D2850006 0000A505
	v_readlane_b32 s82, v3, 7                                  // 000000004D1C: D2890052 00010F03
	s_lshr_b32 s61, s82, 24                                    // 000000004D24: 8F3D9852
	s_and_b32 s82, s82, 0xffffff                               // 000000004D28: 8652FF52 00FFFFFF
	s_mul_i32 s82, s82, s71                                    // 000000004D30: 92524752
	s_mul_i32 s61, s60, s61                                    // 000000004D34: 923D3D3C
	s_add_u32 s82, s82, s61                                    // 000000004D38: 80523D52
	v_mul_lo_u32 v7, v4, s82                                   // 000000004D3C: D2850007 0000A504
	v_add_u32_e32 v39, v6, v7                                  // 000000004D44: 684E0F06
	v_and_b32_e32 v4, 31, v0                                   // 000000004D48: 2608009F
	v_lshrrev_b32_e32 v4, 1, v4                                // 000000004D4C: 20080881
	s_cmp_eq_u32 s88, 0                                        // 000000004D50: BF068058
	s_cselect_b32 s61, 2, 4                                    // 000000004D54: 853D8482
	v_mul_lo_u32 v4, v4, s61                                   // 000000004D58: D2850004 00007B04
	v_and_b32_e64 v5, v0, 1                                    // 000000004D60: D1130005 00010300
	v_add_u32_e32 v4, v4, v5                                   // 000000004D68: 68080B04
	v_lshlrev_b32_e32 v4, 2, v4                                // 000000004D6C: 24080882
	v_add_u32_e32 v36, v36, v4                                 // 000000004D70: 68480924
	v_add_u32_e32 v37, v37, v4                                 // 000000004D74: 684A0925
	v_add_u32_e32 v38, v38, v4                                 // 000000004D78: 684C0926
	v_add_u32_e32 v39, v39, v4                                 // 000000004D7C: 684E0927
	s_waitcnt lgkmcnt(0)                                       // 000000004D80: BF8CC07F
	s_barrier                                                  // 000000004D84: BF8A0000
	ds_read_b32 v44, v21                                       // 000000004D88: D86C0000 2C000015
	ds_read_b32 v45, v21 offset:64                             // 000000004D90: D86C0040 2D000015
	ds_read_b32 v48, v21 offset:2176                           // 000000004D98: D86C0880 30000015
	ds_read_b32 v49, v21 offset:2240                           // 000000004DA0: D86C08C0 31000015
	s_waitcnt lgkmcnt(0)                                       // 000000004DA8: BF8CC07F
	s_mov_b32 s36, -1                                          // 000000004DAC: BEA400C1
	s_mov_b32 s37, -1                                          // 000000004DB0: BEA500C1
	v_mov_b32_e32 v7, 0                                        // 000000004DB4: 7E0E0280
	s_mov_b64 exec, s[36:37]                                   // 000000004DB8: BEFE0124
	v_mov_b32_e32 v6, v36                                      // 000000004DBC: 7E0C0324
	s_mov_b64 s[60:61], 0                                      // 000000004DC0: BEBC0180
	v_readlane_b32 s82, v3, 0                                  // 000000004DC4: D2890052 00010103
	s_and_b32 s82, s82, 0xffffff                               // 000000004DCC: 8652FF52 00FFFFFF
	s_cmp_lt_u32 s82, s66                                      // 000000004DD4: BF0A4252
	s_cselect_b32 s20, s36, s60                                // 000000004DD8: 85143C24
	v_readlane_b32 s82, v3, 1                                  // 000000004DDC: D2890052 00010303
	s_and_b32 s82, s82, 0xffffff                               // 000000004DE4: 8652FF52 00FFFFFF
	s_cmp_lt_u32 s82, s66                                      // 000000004DEC: BF0A4252
	s_cselect_b32 s21, s36, s60                                // 000000004DF0: 85153C24
	s_mov_b64 exec, s[20:21]                                   // 000000004DF4: BEFE0114
	global_atomic_add_f32 v6, v44, s[8:9]                      // 000000004DF8: DD348000 00082C06
	s_mov_b64 exec, s[36:37]                                   // 000000004E00: BEFE0124
	v_mov_b32_e32 v6, v37                                      // 000000004E04: 7E0C0325
	s_mov_b64 s[60:61], 0                                      // 000000004E08: BEBC0180
	v_readlane_b32 s82, v3, 2                                  // 000000004E0C: D2890052 00010503
	s_and_b32 s82, s82, 0xffffff                               // 000000004E14: 8652FF52 00FFFFFF
	s_cmp_lt_u32 s82, s66                                      // 000000004E1C: BF0A4252
	s_cselect_b32 s20, s36, s60                                // 000000004E20: 85143C24
	v_readlane_b32 s82, v3, 3                                  // 000000004E24: D2890052 00010703
	s_and_b32 s82, s82, 0xffffff                               // 000000004E2C: 8652FF52 00FFFFFF
	s_cmp_lt_u32 s82, s66                                      // 000000004E34: BF0A4252
	s_cselect_b32 s21, s36, s60                                // 000000004E38: 85153C24
	s_mov_b64 exec, s[20:21]                                   // 000000004E3C: BEFE0114
	global_atomic_add_f32 v6, v45, s[8:9]                      // 000000004E40: DD348000 00082D06
	s_mov_b64 exec, s[36:37]                                   // 000000004E48: BEFE0124
	v_mov_b32_e32 v6, v38                                      // 000000004E4C: 7E0C0326
	s_mov_b64 s[60:61], 0                                      // 000000004E50: BEBC0180
	v_readlane_b32 s82, v3, 4                                  // 000000004E54: D2890052 00010903
	s_and_b32 s82, s82, 0xffffff                               // 000000004E5C: 8652FF52 00FFFFFF
	s_cmp_lt_u32 s82, s66                                      // 000000004E64: BF0A4252
	s_cselect_b32 s20, s36, s60                                // 000000004E68: 85143C24
	v_readlane_b32 s82, v3, 5                                  // 000000004E6C: D2890052 00010B03
	s_and_b32 s82, s82, 0xffffff                               // 000000004E74: 8652FF52 00FFFFFF
	s_cmp_lt_u32 s82, s66                                      // 000000004E7C: BF0A4252
	s_cselect_b32 s21, s36, s60                                // 000000004E80: 85153C24
	s_mov_b64 exec, s[20:21]                                   // 000000004E84: BEFE0114
	global_atomic_add_f32 v6, v48, s[8:9]                      // 000000004E88: DD348000 00083006
	s_mov_b64 exec, s[36:37]                                   // 000000004E90: BEFE0124
	v_mov_b32_e32 v6, v39                                      // 000000004E94: 7E0C0327
	s_mov_b64 s[60:61], 0                                      // 000000004E98: BEBC0180
	v_readlane_b32 s82, v3, 6                                  // 000000004E9C: D2890052 00010D03
	s_and_b32 s82, s82, 0xffffff                               // 000000004EA4: 8652FF52 00FFFFFF
	s_cmp_lt_u32 s82, s66                                      // 000000004EAC: BF0A4252
	s_cselect_b32 s20, s36, s60                                // 000000004EB0: 85143C24
	v_readlane_b32 s82, v3, 7                                  // 000000004EB4: D2890052 00010F03
	s_and_b32 s82, s82, 0xffffff                               // 000000004EBC: 8652FF52 00FFFFFF
	s_cmp_lt_u32 s82, s66                                      // 000000004EC4: BF0A4252
	s_cselect_b32 s21, s36, s60                                // 000000004EC8: 85153C24
	s_mov_b64 exec, s[20:21]                                   // 000000004ECC: BEFE0114
	global_atomic_add_f32 v6, v49, s[8:9]                      // 000000004ED0: DD348000 00083106
	s_mov_b64 exec, s[36:37]                                   // 000000004ED8: BEFE0124
	ds_write_b64 v20, v[46:47]                                 // 000000004EDC: D89A0000 00002E14
	ds_write_b64 v20, v[50:51] offset:2176                     // 000000004EE4: D89A0880 00003214
	s_waitcnt lgkmcnt(0)                                       // 000000004EEC: BF8CC07F
	s_barrier                                                  // 000000004EF0: BF8A0000
	ds_read_b32 v46, v21                                       // 000000004EF4: D86C0000 2E000015
	ds_read_b32 v47, v21 offset:64                             // 000000004EFC: D86C0040 2F000015
	ds_read_b32 v50, v21 offset:2176                           // 000000004F04: D86C0880 32000015
	ds_read_b32 v51, v21 offset:2240                           // 000000004F0C: D86C08C0 33000015
	s_waitcnt lgkmcnt(0)                                       // 000000004F14: BF8CC07F
	v_mov_b32_e32 v7, 0                                        // 000000004F18: 7E0E0280
	s_mov_b64 exec, s[36:37]                                   // 000000004F1C: BEFE0124
	v_mov_b32_e32 v6, v36                                      // 000000004F20: 7E0C0324
	s_mov_b64 s[60:61], 0                                      // 000000004F24: BEBC0180
	v_readlane_b32 s82, v3, 0                                  // 000000004F28: D2890052 00010103
	s_and_b32 s82, s82, 0xffffff                               // 000000004F30: 8652FF52 00FFFFFF
	s_cmp_lt_u32 s82, s66                                      // 000000004F38: BF0A4252
	s_cselect_b32 s20, s36, s60                                // 000000004F3C: 85143C24
	v_readlane_b32 s82, v3, 1                                  // 000000004F40: D2890052 00010303
	s_and_b32 s82, s82, 0xffffff                               // 000000004F48: 8652FF52 00FFFFFF
	s_cmp_lt_u32 s82, s66                                      // 000000004F50: BF0A4252
	s_cselect_b32 s21, s36, s60                                // 000000004F54: 85153C24
	s_mov_b64 exec, s[20:21]                                   // 000000004F58: BEFE0114
	global_atomic_add_f32 v6, v46, s[8:9] offset:8             // 000000004F5C: DD348008 00082E06
	s_mov_b64 exec, s[36:37]                                   // 000000004F64: BEFE0124
	v_mov_b32_e32 v6, v37                                      // 000000004F68: 7E0C0325
	s_mov_b64 s[60:61], 0                                      // 000000004F6C: BEBC0180
	v_readlane_b32 s82, v3, 2                                  // 000000004F70: D2890052 00010503
	s_and_b32 s82, s82, 0xffffff                               // 000000004F78: 8652FF52 00FFFFFF
	s_cmp_lt_u32 s82, s66                                      // 000000004F80: BF0A4252
	s_cselect_b32 s20, s36, s60                                // 000000004F84: 85143C24
	v_readlane_b32 s82, v3, 3                                  // 000000004F88: D2890052 00010703
	s_and_b32 s82, s82, 0xffffff                               // 000000004F90: 8652FF52 00FFFFFF
	s_cmp_lt_u32 s82, s66                                      // 000000004F98: BF0A4252
	s_cselect_b32 s21, s36, s60                                // 000000004F9C: 85153C24
	s_mov_b64 exec, s[20:21]                                   // 000000004FA0: BEFE0114
	global_atomic_add_f32 v6, v47, s[8:9] offset:8             // 000000004FA4: DD348008 00082F06
	s_mov_b64 exec, s[36:37]                                   // 000000004FAC: BEFE0124
	v_mov_b32_e32 v6, v38                                      // 000000004FB0: 7E0C0326
	s_mov_b64 s[60:61], 0                                      // 000000004FB4: BEBC0180
	v_readlane_b32 s82, v3, 4                                  // 000000004FB8: D2890052 00010903
	s_and_b32 s82, s82, 0xffffff                               // 000000004FC0: 8652FF52 00FFFFFF
	s_cmp_lt_u32 s82, s66                                      // 000000004FC8: BF0A4252
	s_cselect_b32 s20, s36, s60                                // 000000004FCC: 85143C24
	v_readlane_b32 s82, v3, 5                                  // 000000004FD0: D2890052 00010B03
	s_and_b32 s82, s82, 0xffffff                               // 000000004FD8: 8652FF52 00FFFFFF
	s_cmp_lt_u32 s82, s66                                      // 000000004FE0: BF0A4252
	s_cselect_b32 s21, s36, s60                                // 000000004FE4: 85153C24
	s_mov_b64 exec, s[20:21]                                   // 000000004FE8: BEFE0114
	global_atomic_add_f32 v6, v50, s[8:9] offset:8             // 000000004FEC: DD348008 00083206
	s_mov_b64 exec, s[36:37]                                   // 000000004FF4: BEFE0124
	v_mov_b32_e32 v6, v39                                      // 000000004FF8: 7E0C0327
	s_mov_b64 s[60:61], 0                                      // 000000004FFC: BEBC0180
	v_readlane_b32 s82, v3, 6                                  // 000000005000: D2890052 00010D03
	s_and_b32 s82, s82, 0xffffff                               // 000000005008: 8652FF52 00FFFFFF
	s_cmp_lt_u32 s82, s66                                      // 000000005010: BF0A4252
	s_cselect_b32 s20, s36, s60                                // 000000005014: 85143C24
	v_readlane_b32 s82, v3, 7                                  // 000000005018: D2890052 00010F03
	s_and_b32 s82, s82, 0xffffff                               // 000000005020: 8652FF52 00FFFFFF
	s_cmp_lt_u32 s82, s66                                      // 000000005028: BF0A4252
	s_cselect_b32 s21, s36, s60                                // 00000000502C: 85153C24
	s_mov_b64 exec, s[20:21]                                   // 000000005030: BEFE0114
	global_atomic_add_f32 v6, v51, s[8:9] offset:8             // 000000005034: DD348008 00083306
	s_mov_b64 exec, s[36:37]                                   // 00000000503C: BEFE0124
	ds_write_b64 v20, v[52:53]                                 // 000000005040: D89A0000 00003414
	ds_write_b64 v20, v[56:57] offset:2176                     // 000000005048: D89A0880 00003814
	s_waitcnt lgkmcnt(0)                                       // 000000005050: BF8CC07F
	s_barrier                                                  // 000000005054: BF8A0000
	ds_read_b32 v52, v21                                       // 000000005058: D86C0000 34000015
	ds_read_b32 v53, v21 offset:64                             // 000000005060: D86C0040 35000015
	ds_read_b32 v56, v21 offset:2176                           // 000000005068: D86C0880 38000015
	ds_read_b32 v57, v21 offset:2240                           // 000000005070: D86C08C0 39000015
	s_mul_i32 s60, s65, 4                                      // 000000005078: 923C8441
	s_add_u32 s8, s60, s8                                      // 00000000507C: 8008083C
	s_addc_u32 s9, 0, s9                                       // 000000005080: 82090980
	s_waitcnt lgkmcnt(0)                                       // 000000005084: BF8CC07F
	v_mov_b32_e32 v7, 0                                        // 000000005088: 7E0E0280
	s_mov_b64 exec, s[36:37]                                   // 00000000508C: BEFE0124
	v_mov_b32_e32 v6, v36                                      // 000000005090: 7E0C0324
	s_mov_b64 s[60:61], 0                                      // 000000005094: BEBC0180
	v_readlane_b32 s82, v3, 0                                  // 000000005098: D2890052 00010103
	s_and_b32 s82, s82, 0xffffff                               // 0000000050A0: 8652FF52 00FFFFFF
	s_cmp_lt_u32 s82, s66                                      // 0000000050A8: BF0A4252
	s_cselect_b32 s20, s36, s60                                // 0000000050AC: 85143C24
	v_readlane_b32 s82, v3, 1                                  // 0000000050B0: D2890052 00010303
	s_and_b32 s82, s82, 0xffffff                               // 0000000050B8: 8652FF52 00FFFFFF
	s_cmp_lt_u32 s82, s66                                      // 0000000050C0: BF0A4252
	s_cselect_b32 s21, s36, s60                                // 0000000050C4: 85153C24
	s_mov_b64 exec, s[20:21]                                   // 0000000050C8: BEFE0114
	global_atomic_add_f32 v6, v52, s[8:9]                      // 0000000050CC: DD348000 00083406
	s_mov_b64 exec, s[36:37]                                   // 0000000050D4: BEFE0124
	v_mov_b32_e32 v6, v37                                      // 0000000050D8: 7E0C0325
	s_mov_b64 s[60:61], 0                                      // 0000000050DC: BEBC0180
	v_readlane_b32 s82, v3, 2                                  // 0000000050E0: D2890052 00010503
	s_and_b32 s82, s82, 0xffffff                               // 0000000050E8: 8652FF52 00FFFFFF
	s_cmp_lt_u32 s82, s66                                      // 0000000050F0: BF0A4252
	s_cselect_b32 s20, s36, s60                                // 0000000050F4: 85143C24
	v_readlane_b32 s82, v3, 3                                  // 0000000050F8: D2890052 00010703
	s_and_b32 s82, s82, 0xffffff                               // 000000005100: 8652FF52 00FFFFFF
	s_cmp_lt_u32 s82, s66                                      // 000000005108: BF0A4252
	s_cselect_b32 s21, s36, s60                                // 00000000510C: 85153C24
	s_mov_b64 exec, s[20:21]                                   // 000000005110: BEFE0114
	global_atomic_add_f32 v6, v53, s[8:9]                      // 000000005114: DD348000 00083506
	s_mov_b64 exec, s[36:37]                                   // 00000000511C: BEFE0124
	v_mov_b32_e32 v6, v38                                      // 000000005120: 7E0C0326
	s_mov_b64 s[60:61], 0                                      // 000000005124: BEBC0180
	v_readlane_b32 s82, v3, 4                                  // 000000005128: D2890052 00010903
	s_and_b32 s82, s82, 0xffffff                               // 000000005130: 8652FF52 00FFFFFF
	s_cmp_lt_u32 s82, s66                                      // 000000005138: BF0A4252
	s_cselect_b32 s20, s36, s60                                // 00000000513C: 85143C24
	v_readlane_b32 s82, v3, 5                                  // 000000005140: D2890052 00010B03
	s_and_b32 s82, s82, 0xffffff                               // 000000005148: 8652FF52 00FFFFFF
	s_cmp_lt_u32 s82, s66                                      // 000000005150: BF0A4252
	s_cselect_b32 s21, s36, s60                                // 000000005154: 85153C24
	s_mov_b64 exec, s[20:21]                                   // 000000005158: BEFE0114
	global_atomic_add_f32 v6, v56, s[8:9]                      // 00000000515C: DD348000 00083806
	s_mov_b64 exec, s[36:37]                                   // 000000005164: BEFE0124
	v_mov_b32_e32 v6, v39                                      // 000000005168: 7E0C0327
	s_mov_b64 s[60:61], 0                                      // 00000000516C: BEBC0180
	v_readlane_b32 s82, v3, 6                                  // 000000005170: D2890052 00010D03
	s_and_b32 s82, s82, 0xffffff                               // 000000005178: 8652FF52 00FFFFFF
	s_cmp_lt_u32 s82, s66                                      // 000000005180: BF0A4252
	s_cselect_b32 s20, s36, s60                                // 000000005184: 85143C24
	v_readlane_b32 s82, v3, 7                                  // 000000005188: D2890052 00010F03
	s_and_b32 s82, s82, 0xffffff                               // 000000005190: 8652FF52 00FFFFFF
	s_cmp_lt_u32 s82, s66                                      // 000000005198: BF0A4252
	s_cselect_b32 s21, s36, s60                                // 00000000519C: 85153C24
	s_mov_b64 exec, s[20:21]                                   // 0000000051A0: BEFE0114
	global_atomic_add_f32 v6, v57, s[8:9]                      // 0000000051A4: DD348000 00083906
	s_mov_b64 exec, s[36:37]                                   // 0000000051AC: BEFE0124
	ds_write_b64 v20, v[54:55]                                 // 0000000051B0: D89A0000 00003614
	ds_write_b64 v20, v[58:59] offset:2176                     // 0000000051B8: D89A0880 00003A14
	s_waitcnt lgkmcnt(0)                                       // 0000000051C0: BF8CC07F
	s_barrier                                                  // 0000000051C4: BF8A0000
	ds_read_b32 v54, v21                                       // 0000000051C8: D86C0000 36000015
	ds_read_b32 v55, v21 offset:64                             // 0000000051D0: D86C0040 37000015
	ds_read_b32 v58, v21 offset:2176                           // 0000000051D8: D86C0880 3A000015
	ds_read_b32 v59, v21 offset:2240                           // 0000000051E0: D86C08C0 3B000015
	s_waitcnt lgkmcnt(0)                                       // 0000000051E8: BF8CC07F
	v_mov_b32_e32 v7, 0                                        // 0000000051EC: 7E0E0280
	s_mov_b64 exec, s[36:37]                                   // 0000000051F0: BEFE0124
	v_mov_b32_e32 v6, v36                                      // 0000000051F4: 7E0C0324
	s_mov_b64 s[60:61], 0                                      // 0000000051F8: BEBC0180
	v_readlane_b32 s82, v3, 0                                  // 0000000051FC: D2890052 00010103
	s_and_b32 s82, s82, 0xffffff                               // 000000005204: 8652FF52 00FFFFFF
	s_cmp_lt_u32 s82, s66                                      // 00000000520C: BF0A4252
	s_cselect_b32 s20, s36, s60                                // 000000005210: 85143C24
	v_readlane_b32 s82, v3, 1                                  // 000000005214: D2890052 00010303
	s_and_b32 s82, s82, 0xffffff                               // 00000000521C: 8652FF52 00FFFFFF
	s_cmp_lt_u32 s82, s66                                      // 000000005224: BF0A4252
	s_cselect_b32 s21, s36, s60                                // 000000005228: 85153C24
	s_mov_b64 exec, s[20:21]                                   // 00000000522C: BEFE0114
	global_atomic_add_f32 v6, v54, s[8:9] offset:8             // 000000005230: DD348008 00083606
	s_mov_b64 exec, s[36:37]                                   // 000000005238: BEFE0124
	v_mov_b32_e32 v6, v37                                      // 00000000523C: 7E0C0325
	s_mov_b64 s[60:61], 0                                      // 000000005240: BEBC0180
	v_readlane_b32 s82, v3, 2                                  // 000000005244: D2890052 00010503
	s_and_b32 s82, s82, 0xffffff                               // 00000000524C: 8652FF52 00FFFFFF
	s_cmp_lt_u32 s82, s66                                      // 000000005254: BF0A4252
	s_cselect_b32 s20, s36, s60                                // 000000005258: 85143C24
	v_readlane_b32 s82, v3, 3                                  // 00000000525C: D2890052 00010703
	s_and_b32 s82, s82, 0xffffff                               // 000000005264: 8652FF52 00FFFFFF
	s_cmp_lt_u32 s82, s66                                      // 00000000526C: BF0A4252
	s_cselect_b32 s21, s36, s60                                // 000000005270: 85153C24
	s_mov_b64 exec, s[20:21]                                   // 000000005274: BEFE0114
	global_atomic_add_f32 v6, v55, s[8:9] offset:8             // 000000005278: DD348008 00083706
	s_mov_b64 exec, s[36:37]                                   // 000000005280: BEFE0124
	v_mov_b32_e32 v6, v38                                      // 000000005284: 7E0C0326
	s_mov_b64 s[60:61], 0                                      // 000000005288: BEBC0180
	v_readlane_b32 s82, v3, 4                                  // 00000000528C: D2890052 00010903
	s_and_b32 s82, s82, 0xffffff                               // 000000005294: 8652FF52 00FFFFFF
	s_cmp_lt_u32 s82, s66                                      // 00000000529C: BF0A4252
	s_cselect_b32 s20, s36, s60                                // 0000000052A0: 85143C24
	v_readlane_b32 s82, v3, 5                                  // 0000000052A4: D2890052 00010B03
	s_and_b32 s82, s82, 0xffffff                               // 0000000052AC: 8652FF52 00FFFFFF
	s_cmp_lt_u32 s82, s66                                      // 0000000052B4: BF0A4252
	s_cselect_b32 s21, s36, s60                                // 0000000052B8: 85153C24
	s_mov_b64 exec, s[20:21]                                   // 0000000052BC: BEFE0114
	global_atomic_add_f32 v6, v58, s[8:9] offset:8             // 0000000052C0: DD348008 00083A06
	s_mov_b64 exec, s[36:37]                                   // 0000000052C8: BEFE0124
	v_mov_b32_e32 v6, v39                                      // 0000000052CC: 7E0C0327
	s_mov_b64 s[60:61], 0                                      // 0000000052D0: BEBC0180
	v_readlane_b32 s82, v3, 6                                  // 0000000052D4: D2890052 00010D03
	s_and_b32 s82, s82, 0xffffff                               // 0000000052DC: 8652FF52 00FFFFFF
	s_cmp_lt_u32 s82, s66                                      // 0000000052E4: BF0A4252
	s_cselect_b32 s20, s36, s60                                // 0000000052E8: 85143C24
	v_readlane_b32 s82, v3, 7                                  // 0000000052EC: D2890052 00010F03
	s_and_b32 s82, s82, 0xffffff                               // 0000000052F4: 8652FF52 00FFFFFF
	s_cmp_lt_u32 s82, s66                                      // 0000000052FC: BF0A4252
	s_cselect_b32 s21, s36, s60                                // 000000005300: 85153C24
	s_mov_b64 exec, s[20:21]                                   // 000000005304: BEFE0114
	global_atomic_add_f32 v6, v59, s[8:9] offset:8             // 000000005308: DD348008 00083B06
	s_mov_b64 exec, s[36:37]                                   // 000000005310: BEFE0124
	s_branch label_0A49                                        // 000000005314: BF820000

0000000000005318 <label_0A49>:
	s_waitcnt vmcnt(0) expcnt(0) lgkmcnt(0)                    // 000000005318: BF8C0000
	s_endpgm                                                   // 00000000531C: BF810000
